;; amdgpu-corpus repo=ROCm/rocFFT kind=compiled arch=gfx1030 opt=O3
	.text
	.amdgcn_target "amdgcn-amd-amdhsa--gfx1030"
	.amdhsa_code_object_version 6
	.protected	bluestein_single_fwd_len1400_dim1_dp_op_CI_CI ; -- Begin function bluestein_single_fwd_len1400_dim1_dp_op_CI_CI
	.globl	bluestein_single_fwd_len1400_dim1_dp_op_CI_CI
	.p2align	8
	.type	bluestein_single_fwd_len1400_dim1_dp_op_CI_CI,@function
bluestein_single_fwd_len1400_dim1_dp_op_CI_CI: ; @bluestein_single_fwd_len1400_dim1_dp_op_CI_CI
; %bb.0:
	s_load_dwordx4 s[12:15], s[4:5], 0x28
	v_mul_u32_u24_e32 v1, 0x493, v0
	s_mov_b64 s[38:39], s[2:3]
	s_mov_b64 s[36:37], s[0:1]
	v_mov_b32_e32 v12, 0
	s_add_u32 s36, s36, s7
	v_lshrrev_b32_e32 v1, 16, v1
	s_addc_u32 s37, s37, 0
	s_mov_b32 s0, exec_lo
	v_add_nc_u32_e32 v11, s6, v1
	s_waitcnt lgkmcnt(0)
	v_cmpx_gt_u64_e64 s[12:13], v[11:12]
	s_cbranch_execz .LBB0_39
; %bb.1:
	s_clause 0x1
	s_load_dwordx4 s[0:3], s[4:5], 0x18
	s_load_dwordx2 s[12:13], s[4:5], 0x0
	v_mul_lo_u16 v1, v1, 56
	v_mov_b32_e32 v12, v11
	v_sub_nc_u16 v2, v0, v1
	v_and_b32_e32 v185, 0xffff, v2
	v_lshlrev_b32_e32 v180, 4, v185
	v_or_b32_e32 v21, 0x1c0, v185
	s_waitcnt lgkmcnt(0)
	s_load_dwordx4 s[8:11], s[0:1], 0x0
	s_clause 0x2
	global_load_dwordx4 v[214:217], v180, s[12:13]
	global_load_dwordx4 v[210:213], v180, s[12:13] offset:896
	global_load_dwordx4 v[190:193], v180, s[12:13] offset:1792
	v_add_co_u32 v97, s0, s12, v180
	v_add_co_ci_u32_e64 v98, null, s13, 0, s0
	v_lshlrev_b32_e32 v16, 4, v21
	v_add_co_u32 v19, vcc_lo, 0x2800, v97
	v_add_co_ci_u32_e32 v20, vcc_lo, 0, v98, vcc_lo
	buffer_store_dword v12, off, s[36:39], 0 offset:48 ; 4-byte Folded Spill
	buffer_store_dword v13, off, s[36:39], 0 offset:52 ; 4-byte Folded Spill
	;; [unrolled: 1-line block ×3, first 2 shown]
	s_clause 0x1
	global_load_dwordx4 v[127:130], v16, s[12:13]
	global_load_dwordx4 v[218:221], v[19:20], off offset:960
	buffer_store_dword v19, off, s[36:39], 0 offset:40 ; 4-byte Folded Spill
	buffer_store_dword v20, off, s[36:39], 0 offset:44 ; 4-byte Folded Spill
	v_add_co_u32 v3, vcc_lo, 0x3000, v97
	v_add_co_ci_u32_e32 v4, vcc_lo, 0, v98, vcc_lo
	s_waitcnt lgkmcnt(0)
	v_mad_u64_u32 v[0:1], null, s10, v11, 0
	v_mad_u64_u32 v[5:6], null, s8, v185, 0
	v_add_co_u32 v7, vcc_lo, 0x800, v97
	v_add_co_ci_u32_e32 v8, vcc_lo, 0, v98, vcc_lo
	v_mad_u64_u32 v[11:12], null, s11, v11, v[1:2]
	v_mad_u64_u32 v[14:15], null, s9, v185, v[6:7]
	v_add_co_u32 v9, vcc_lo, 0x3800, v97
	v_add_co_ci_u32_e32 v10, vcc_lo, 0, v98, vcc_lo
	v_mov_b32_e32 v1, v11
	v_add_co_u32 v12, vcc_lo, 0x1000, v97
	v_mov_b32_e32 v6, v14
	v_add_co_ci_u32_e32 v13, vcc_lo, 0, v98, vcc_lo
	v_lshlrev_b64 v[0:1], 4, v[0:1]
	s_mul_i32 s1, s9, 0x2bc
	v_lshlrev_b64 v[5:6], 4, v[5:6]
	s_mul_hi_u32 s7, s8, 0x2bc
	s_mul_i32 s0, s8, 0x2bc
	s_add_i32 s1, s7, s1
	v_add_co_u32 v11, vcc_lo, s14, v0
	v_add_co_ci_u32_e32 v18, vcc_lo, s15, v1, vcc_lo
	s_mul_hi_u32 s11, s8, 0xfffffd7c
	v_add_co_u32 v0, vcc_lo, v11, v5
	v_add_co_ci_u32_e32 v1, vcc_lo, v18, v6, vcc_lo
	s_lshl_b64 s[14:15], s[0:1], 4
	s_mul_i32 s10, s9, 0xfffffd7c
	s_sub_i32 s7, s11, s8
	v_add_co_u32 v14, vcc_lo, v0, s14
	s_mul_i32 s6, s8, 0xfffffd7c
	s_add_i32 s7, s7, s10
	v_add_co_ci_u32_e32 v15, vcc_lo, s15, v1, vcc_lo
	s_lshl_b64 s[0:1], s[6:7], 4
	s_load_dwordx2 s[6:7], s[4:5], 0x38
	v_add_co_u32 v16, vcc_lo, v14, s0
	v_add_co_ci_u32_e32 v17, vcc_lo, s1, v15, vcc_lo
	global_load_dwordx4 v[206:209], v[19:20], off offset:1856
	v_add_co_u32 v19, vcc_lo, v16, s14
	v_add_co_ci_u32_e32 v20, vcc_lo, s15, v17, vcc_lo
	s_clause 0x1
	global_load_dwordx4 v[202:205], v[3:4], off offset:704
	global_load_dwordx4 v[194:197], v[3:4], off offset:1600
	v_add_co_u32 v23, vcc_lo, v19, s0
	v_add_co_ci_u32_e32 v24, vcc_lo, s1, v20, vcc_lo
	v_mad_u64_u32 v[3:4], null, s8, v21, 0
	v_add_co_u32 v27, vcc_lo, v23, s14
	v_add_co_ci_u32_e32 v28, vcc_lo, s15, v24, vcc_lo
	s_clause 0x1
	global_load_dwordx4 v[198:201], v[7:8], off offset:640
	global_load_dwordx4 v[175:178], v[7:8], off offset:1536
	v_add_co_u32 v31, vcc_lo, v27, s0
	v_add_co_ci_u32_e32 v32, vcc_lo, s1, v28, vcc_lo
	v_mad_u64_u32 v[4:5], null, s9, v21, v[4:5]
	v_add_co_u32 v35, vcc_lo, v31, s14
	v_add_co_ci_u32_e32 v36, vcc_lo, s15, v32, vcc_lo
	s_clause 0x1
	global_load_dwordx4 v[181:184], v[9:10], off offset:448
	global_load_dwordx4 v[155:158], v[9:10], off offset:1344
	v_add_co_u32 v39, vcc_lo, v35, s0
	v_add_co_ci_u32_e32 v40, vcc_lo, s1, v36, vcc_lo
	v_lshlrev_b64 v[3:4], 4, v[3:4]
	v_add_co_u32 v43, vcc_lo, v39, s14
	v_add_co_ci_u32_e32 v44, vcc_lo, s15, v40, vcc_lo
	buffer_store_dword v21, off, s[36:39], 0 offset:56 ; 4-byte Folded Spill
	v_add_co_u32 v47, vcc_lo, v43, s0
	v_add_co_ci_u32_e32 v48, vcc_lo, s1, v44, vcc_lo
	s_clause 0x1
	global_load_dwordx4 v[163:166], v[12:13], off offset:384
	global_load_dwordx4 v[159:162], v[12:13], off offset:1280
	v_add_co_u32 v51, vcc_lo, v47, s14
	v_add_co_ci_u32_e32 v52, vcc_lo, s15, v48, vcc_lo
	global_load_dwordx4 v[7:10], v[14:15], off
	v_add_co_u32 v55, vcc_lo, v51, s0
	v_add_co_ci_u32_e32 v56, vcc_lo, s1, v52, vcc_lo
	v_add_co_u32 v11, vcc_lo, v11, v3
	v_add_co_ci_u32_e32 v12, vcc_lo, v18, v4, vcc_lo
	;; [unrolled: 2-line block ×3, first 2 shown]
	global_load_dwordx4 v[3:6], v[0:1], off
	v_add_co_u32 v0, vcc_lo, v59, s0
	v_add_co_ci_u32_e32 v1, vcc_lo, s1, v60, vcc_lo
	s_clause 0x2
	global_load_dwordx4 v[11:14], v[11:12], off
	global_load_dwordx4 v[15:18], v[16:17], off
	;; [unrolled: 1-line block ×3, first 2 shown]
	v_add_co_u32 v67, vcc_lo, v0, s14
	v_add_co_ci_u32_e32 v68, vcc_lo, s15, v1, vcc_lo
	v_add_co_u32 v75, vcc_lo, 0x4000, v97
	v_add_co_ci_u32_e32 v76, vcc_lo, 0, v98, vcc_lo
	v_mad_u64_u32 v[71:72], null, 0x380, s8, v[67:68]
	global_load_dwordx4 v[23:26], v[23:24], off
	global_load_dwordx4 v[27:30], v[27:28], off
	;; [unrolled: 1-line block ×10, first 2 shown]
	v_mov_b32_e32 v63, v72
	v_mad_u64_u32 v[69:70], null, 0x380, s9, v[63:64]
	global_load_dwordx4 v[63:66], v[0:1], off
	v_add_co_u32 v0, vcc_lo, 0x1800, v97
	v_add_co_ci_u32_e32 v1, vcc_lo, 0, v98, vcc_lo
	v_add_co_u32 v79, vcc_lo, v71, s0
	v_mov_b32_e32 v72, v69
	global_load_dwordx4 v[67:70], v[67:68], off
	v_add_co_ci_u32_e32 v80, vcc_lo, s1, v72, vcc_lo
	s_clause 0x1
	global_load_dwordx4 v[186:189], v[75:76], off offset:192
	global_load_dwordx4 v[167:170], v[75:76], off offset:1088
	global_load_dwordx4 v[71:74], v[71:72], off
	global_load_dwordx4 v[131:134], v[75:76], off offset:1984
	global_load_dwordx4 v[75:78], v[79:80], off
	s_clause 0x1
	global_load_dwordx4 v[171:174], v[0:1], off offset:128
	global_load_dwordx4 v[123:126], v[0:1], off offset:1920
	v_add_co_u32 v0, vcc_lo, v79, s14
	v_add_co_ci_u32_e32 v1, vcc_lo, s15, v80, vcc_lo
	v_add_co_u32 v91, vcc_lo, 0x4800, v97
	v_add_co_ci_u32_e32 v92, vcc_lo, 0, v98, vcc_lo
	;; [unrolled: 2-line block ×5, first 2 shown]
	global_load_dwordx4 v[79:82], v[0:1], off
	global_load_dwordx4 v[139:142], v[91:92], off offset:832
	global_load_dwordx4 v[83:86], v[83:84], off
	global_load_dwordx4 v[135:138], v[95:96], off offset:768
	global_load_dwordx4 v[87:90], v[93:94], off
	v_add_co_u32 v93, vcc_lo, v93, s0
	v_add_co_ci_u32_e32 v94, vcc_lo, s1, v94, vcc_lo
	v_add_co_u32 v97, vcc_lo, 0x5000, v97
	v_add_co_ci_u32_e32 v98, vcc_lo, 0, v98, vcc_lo
	;; [unrolled: 2-line block ×3, first 2 shown]
	global_load_dwordx4 v[143:146], v[91:92], off offset:1728
	global_load_dwordx4 v[91:94], v[93:94], off
	global_load_dwordx4 v[147:150], v[95:96], off offset:1664
	buffer_store_dword v97, off, s[36:39], 0 offset:108 ; 4-byte Folded Spill
	buffer_store_dword v98, off, s[36:39], 0 offset:112 ; 4-byte Folded Spill
	v_cmp_gt_u16_e32 vcc_lo, 28, v2
	global_load_dwordx4 v[151:154], v[97:98], off offset:576
	global_load_dwordx4 v[95:98], v[0:1], off
	s_waitcnt vmcnt(32)
	v_mul_f64 v[99:100], v[5:6], v[216:217]
	v_mul_f64 v[101:102], v[3:4], v[216:217]
	;; [unrolled: 1-line block ×4, first 2 shown]
	s_waitcnt vmcnt(30)
	v_mul_f64 v[107:108], v[17:18], v[212:213]
	s_waitcnt vmcnt(29)
	v_mul_f64 v[111:112], v[21:22], v[208:209]
	;; [unrolled: 2-line block ×3, first 2 shown]
	v_mul_f64 v[109:110], v[15:16], v[212:213]
	v_mul_f64 v[113:114], v[19:20], v[208:209]
	v_mul_f64 v[115:116], v[13:14], v[129:130]
	v_mul_f64 v[121:122], v[23:24], v[192:193]
	v_mul_f64 v[117:118], v[11:12], v[129:130]
	v_fma_f64 v[3:4], v[3:4], v[214:215], v[99:100]
	buffer_store_dword v214, off, s[36:39], 0 offset:420 ; 4-byte Folded Spill
	buffer_store_dword v215, off, s[36:39], 0 offset:424 ; 4-byte Folded Spill
	;; [unrolled: 1-line block ×4, first 2 shown]
	s_load_dwordx4 s[8:11], s[2:3], 0x0
	v_fma_f64 v[7:8], v[7:8], v[218:219], v[103:104]
	buffer_store_dword v218, off, s[36:39], 0 offset:436 ; 4-byte Folded Spill
	buffer_store_dword v219, off, s[36:39], 0 offset:440 ; 4-byte Folded Spill
	;; [unrolled: 1-line block ×4, first 2 shown]
	s_waitcnt vmcnt(27)
	v_mul_f64 v[99:100], v[29:30], v[204:205]
	v_fma_f64 v[15:16], v[15:16], v[210:211], v[107:108]
	buffer_store_dword v210, off, s[36:39], 0 offset:404 ; 4-byte Folded Spill
	buffer_store_dword v211, off, s[36:39], 0 offset:408 ; 4-byte Folded Spill
	buffer_store_dword v212, off, s[36:39], 0 offset:412 ; 4-byte Folded Spill
	buffer_store_dword v213, off, s[36:39], 0 offset:416 ; 4-byte Folded Spill
	v_fma_f64 v[19:20], v[19:20], v[206:207], v[111:112]
	buffer_store_dword v206, off, s[36:39], 0 offset:388 ; 4-byte Folded Spill
	buffer_store_dword v207, off, s[36:39], 0 offset:392 ; 4-byte Folded Spill
	buffer_store_dword v208, off, s[36:39], 0 offset:396 ; 4-byte Folded Spill
	buffer_store_dword v209, off, s[36:39], 0 offset:400 ; 4-byte Folded Spill
	v_fma_f64 v[23:24], v[23:24], v[190:191], v[119:120]
	buffer_store_dword v190, off, s[36:39], 0 offset:324 ; 4-byte Folded Spill
	buffer_store_dword v191, off, s[36:39], 0 offset:328 ; 4-byte Folded Spill
	buffer_store_dword v192, off, s[36:39], 0 offset:332 ; 4-byte Folded Spill
	buffer_store_dword v193, off, s[36:39], 0 offset:336 ; 4-byte Folded Spill
	v_fma_f64 v[11:12], v[11:12], v[127:128], v[115:116]
	buffer_store_dword v127, off, s[36:39], 0 offset:76 ; 4-byte Folded Spill
	buffer_store_dword v128, off, s[36:39], 0 offset:80 ; 4-byte Folded Spill
	buffer_store_dword v129, off, s[36:39], 0 offset:84 ; 4-byte Folded Spill
	buffer_store_dword v130, off, s[36:39], 0 offset:88 ; 4-byte Folded Spill
	s_waitcnt vmcnt(26)
	v_mul_f64 v[103:104], v[33:34], v[200:201]
	s_waitcnt vmcnt(25)
	v_mul_f64 v[107:108], v[37:38], v[196:197]
	;; [unrolled: 2-line block ×5, first 2 shown]
	v_fma_f64 v[5:6], v[5:6], v[214:215], -v[101:102]
	v_mul_f64 v[101:102], v[27:28], v[204:205]
	v_fma_f64 v[9:10], v[9:10], v[218:219], -v[105:106]
	v_mul_f64 v[105:106], v[31:32], v[200:201]
	v_fma_f64 v[17:18], v[17:18], v[210:211], -v[109:110]
	v_mul_f64 v[109:110], v[35:36], v[196:197]
	v_fma_f64 v[21:22], v[21:22], v[206:207], -v[113:114]
	v_mul_f64 v[113:114], v[39:40], v[177:178]
	v_fma_f64 v[25:26], v[25:26], v[190:191], -v[121:122]
	v_mul_f64 v[121:122], v[95:96], v[153:154]
	v_fma_f64 v[13:14], v[13:14], v[127:128], -v[117:118]
	v_mul_f64 v[117:118], v[43:44], v[183:184]
	ds_write_b128 v180, v[3:6]
	v_fma_f64 v[3:4], v[27:28], v[202:203], v[99:100]
	buffer_store_dword v202, off, s[36:39], 0 offset:372 ; 4-byte Folded Spill
	buffer_store_dword v203, off, s[36:39], 0 offset:376 ; 4-byte Folded Spill
	buffer_store_dword v204, off, s[36:39], 0 offset:380 ; 4-byte Folded Spill
	buffer_store_dword v205, off, s[36:39], 0 offset:384 ; 4-byte Folded Spill
	v_mul_f64 v[27:28], v[49:50], v[165:166]
	ds_write_b128 v180, v[7:10] offset:11200
	v_fma_f64 v[7:8], v[31:32], v[198:199], v[103:104]
	v_mul_f64 v[31:32], v[53:54], v[157:158]
	v_mul_f64 v[99:100], v[51:52], v[157:158]
	buffer_store_dword v198, off, s[36:39], 0 offset:356 ; 4-byte Folded Spill
	buffer_store_dword v199, off, s[36:39], 0 offset:360 ; 4-byte Folded Spill
	buffer_store_dword v200, off, s[36:39], 0 offset:364 ; 4-byte Folded Spill
	buffer_store_dword v201, off, s[36:39], 0 offset:368 ; 4-byte Folded Spill
	ds_write_b128 v180, v[15:18] offset:896
	v_fma_f64 v[15:16], v[35:36], v[194:195], v[107:108]
	buffer_store_dword v194, off, s[36:39], 0 offset:340 ; 4-byte Folded Spill
	buffer_store_dword v195, off, s[36:39], 0 offset:344 ; 4-byte Folded Spill
	buffer_store_dword v196, off, s[36:39], 0 offset:348 ; 4-byte Folded Spill
	buffer_store_dword v197, off, s[36:39], 0 offset:352 ; 4-byte Folded Spill
	ds_write_b128 v180, v[19:22] offset:12096
	v_fma_f64 v[19:20], v[39:40], v[175:176], v[111:112]
	;; [unrolled: 6-line block ×3, first 2 shown]
	buffer_store_dword v181, off, s[36:39], 0 offset:292 ; 4-byte Folded Spill
	buffer_store_dword v182, off, s[36:39], 0 offset:296 ; 4-byte Folded Spill
	;; [unrolled: 1-line block ×4, first 2 shown]
	v_mul_f64 v[35:36], v[57:58], v[161:162]
	v_mul_f64 v[39:40], v[61:62], v[188:189]
	;; [unrolled: 1-line block ×7, first 2 shown]
	v_fma_f64 v[27:28], v[47:48], v[163:164], v[27:28]
	v_fma_f64 v[31:32], v[51:52], v[155:156], v[31:32]
	v_mul_f64 v[51:52], v[73:74], v[133:134]
	v_fma_f64 v[35:36], v[55:56], v[159:160], v[35:36]
	v_fma_f64 v[39:40], v[59:60], v[186:187], v[39:40]
	;; [unrolled: 1-line block ×4, first 2 shown]
	v_fma_f64 v[5:6], v[29:30], v[202:203], -v[101:102]
	v_mul_f64 v[29:30], v[47:48], v[165:166]
	buffer_store_dword v163, off, s[36:39], 0 offset:228 ; 4-byte Folded Spill
	buffer_store_dword v164, off, s[36:39], 0 offset:232 ; 4-byte Folded Spill
	;; [unrolled: 1-line block ×8, first 2 shown]
	v_mul_f64 v[47:48], v[69:70], v[169:170]
	v_mul_f64 v[101:102], v[75:76], v[125:126]
	v_fma_f64 v[9:10], v[33:34], v[198:199], -v[105:106]
	v_mul_f64 v[105:106], v[79:80], v[141:142]
	v_fma_f64 v[17:18], v[37:38], v[194:195], -v[109:110]
	v_mul_f64 v[37:38], v[55:56], v[161:162]
	v_mul_f64 v[109:110], v[83:84], v[137:138]
	v_fma_f64 v[21:22], v[41:42], v[175:176], -v[113:114]
	v_mul_f64 v[41:42], v[59:60], v[188:189]
	buffer_store_dword v159, off, s[36:39], 0 offset:212 ; 4-byte Folded Spill
	buffer_store_dword v160, off, s[36:39], 0 offset:216 ; 4-byte Folded Spill
	;; [unrolled: 1-line block ×4, first 2 shown]
	v_fma_f64 v[25:26], v[45:46], v[181:182], -v[117:118]
	v_mul_f64 v[45:46], v[63:64], v[173:174]
	buffer_store_dword v186, off, s[36:39], 0 offset:308 ; 4-byte Folded Spill
	buffer_store_dword v187, off, s[36:39], 0 offset:312 ; 4-byte Folded Spill
	;; [unrolled: 1-line block ×8, first 2 shown]
	v_fma_f64 v[59:60], v[79:80], v[139:140], v[103:104]
	v_fma_f64 v[63:64], v[83:84], v[135:136], v[107:108]
	v_mul_f64 v[113:114], v[87:88], v[145:146]
	v_mul_f64 v[117:118], v[91:92], v[149:150]
	v_fma_f64 v[47:48], v[67:68], v[167:168], v[47:48]
	v_fma_f64 v[29:30], v[49:50], v[163:164], -v[29:30]
	v_fma_f64 v[33:34], v[53:54], v[155:156], -v[99:100]
	v_mul_f64 v[99:100], v[77:78], v[125:126]
	v_mul_f64 v[49:50], v[67:68], v[169:170]
	;; [unrolled: 1-line block ×3, first 2 shown]
	buffer_store_dword v167, off, s[36:39], 0 offset:244 ; 4-byte Folded Spill
	buffer_store_dword v168, off, s[36:39], 0 offset:248 ; 4-byte Folded Spill
	buffer_store_dword v169, off, s[36:39], 0 offset:252 ; 4-byte Folded Spill
	buffer_store_dword v170, off, s[36:39], 0 offset:256 ; 4-byte Folded Spill
	buffer_store_dword v131, off, s[36:39], 0 offset:92 ; 4-byte Folded Spill
	buffer_store_dword v132, off, s[36:39], 0 offset:96 ; 4-byte Folded Spill
	buffer_store_dword v133, off, s[36:39], 0 offset:100 ; 4-byte Folded Spill
	buffer_store_dword v134, off, s[36:39], 0 offset:104 ; 4-byte Folded Spill
	v_fma_f64 v[67:68], v[87:88], v[143:144], v[111:112]
	v_fma_f64 v[71:72], v[91:92], v[147:148], v[115:116]
	v_fma_f64 v[37:38], v[57:58], v[159:160], -v[37:38]
	v_fma_f64 v[41:42], v[61:62], v[186:187], -v[41:42]
	;; [unrolled: 1-line block ×3, first 2 shown]
	v_fma_f64 v[55:56], v[75:76], v[123:124], v[99:100]
	buffer_store_dword v123, off, s[36:39], 0 offset:60 ; 4-byte Folded Spill
	buffer_store_dword v124, off, s[36:39], 0 offset:64 ; 4-byte Folded Spill
	;; [unrolled: 1-line block ×20, first 2 shown]
	v_fma_f64 v[75:76], v[95:96], v[151:152], v[119:120]
	buffer_store_dword v151, off, s[36:39], 0 offset:180 ; 4-byte Folded Spill
	buffer_store_dword v152, off, s[36:39], 0 offset:184 ; 4-byte Folded Spill
	;; [unrolled: 1-line block ×4, first 2 shown]
	v_fma_f64 v[49:50], v[69:70], v[167:168], -v[49:50]
	v_fma_f64 v[53:54], v[73:74], v[131:132], -v[53:54]
	;; [unrolled: 1-line block ×7, first 2 shown]
	ds_write_b128 v180, v[3:6] offset:12992
	ds_write_b128 v180, v[7:10] offset:2688
	;; [unrolled: 1-line block ×15, first 2 shown]
	v_fma_f64 v[77:78], v[97:98], v[151:152], -v[121:122]
	ds_write_b128 v180, v[63:66] offset:8960
	ds_write_b128 v180, v[67:70] offset:20160
	;; [unrolled: 1-line block ×4, first 2 shown]
	s_and_saveexec_b32 s2, vcc_lo
	s_cbranch_execz .LBB0_3
; %bb.2:
	v_add_co_u32 v0, s0, v0, s0
	v_add_co_ci_u32_e64 v1, s0, s1, v1, s0
	v_add_co_u32 v12, s0, v0, s14
	v_add_co_ci_u32_e64 v13, s0, s15, v1, s0
	global_load_dwordx4 v[0:3], v[0:1], off
	s_clause 0x1
	buffer_load_dword v4, off, s[36:39], 0 offset:40
	buffer_load_dword v5, off, s[36:39], 0 offset:44
	s_waitcnt vmcnt(0)
	global_load_dwordx4 v[4:7], v[4:5], off offset:512
	s_clause 0x1
	buffer_load_dword v8, off, s[36:39], 0 offset:108
	buffer_load_dword v9, off, s[36:39], 0 offset:112
	s_waitcnt vmcnt(0)
	global_load_dwordx4 v[8:11], v[8:9], off offset:1472
	global_load_dwordx4 v[12:15], v[12:13], off
	v_mul_f64 v[16:17], v[2:3], v[6:7]
	v_mul_f64 v[6:7], v[0:1], v[6:7]
	v_fma_f64 v[0:1], v[0:1], v[4:5], v[16:17]
	v_fma_f64 v[2:3], v[2:3], v[4:5], -v[6:7]
	s_waitcnt vmcnt(0)
	v_mul_f64 v[18:19], v[14:15], v[10:11]
	v_mul_f64 v[10:11], v[12:13], v[10:11]
	v_fma_f64 v[4:5], v[12:13], v[8:9], v[18:19]
	v_fma_f64 v[6:7], v[14:15], v[8:9], -v[10:11]
	ds_write_b128 v180, v[0:3] offset:10752
	ds_write_b128 v180, v[4:7] offset:21952
.LBB0_3:
	s_or_b32 exec_lo, exec_lo, s2
	s_waitcnt lgkmcnt(0)
	s_waitcnt_vscnt null, 0x0
	s_barrier
	buffer_gl0_inv
	ds_read_b128 v[92:95], v180
	ds_read_b128 v[84:87], v180 offset:896
	ds_read_b128 v[100:103], v180 offset:11200
	;; [unrolled: 1-line block ×23, first 2 shown]
                                        ; implicit-def: $vgpr44_vgpr45
                                        ; implicit-def: $vgpr48_vgpr49
	s_and_saveexec_b32 s0, vcc_lo
	s_cbranch_execz .LBB0_5
; %bb.4:
	ds_read_b128 v[44:47], v180 offset:10752
	ds_read_b128 v[48:51], v180 offset:21952
.LBB0_5:
	s_or_b32 exec_lo, exec_lo, s0
	s_waitcnt lgkmcnt(20)
	v_add_f64 v[98:99], v[86:87], -v[98:99]
	v_add_f64 v[100:101], v[92:93], -v[100:101]
	;; [unrolled: 1-line block ×4, first 2 shown]
	s_waitcnt lgkmcnt(16)
	v_add_f64 v[80:81], v[8:9], -v[80:81]
	v_add_f64 v[82:83], v[10:11], -v[82:83]
	s_waitcnt lgkmcnt(13)
	v_add_f64 v[76:77], v[12:13], -v[76:77]
	v_add_f64 v[78:79], v[14:15], -v[78:79]
	;; [unrolled: 3-line block ×5, first 2 shown]
	v_add_co_u32 v210, s0, v185, 56
	v_add_co_ci_u32_e64 v104, null, 0, 0, s0
	v_add_co_u32 v216, s0, 0x70, v185
	v_add_f64 v[64:65], v[24:25], -v[64:65]
	v_add_f64 v[66:67], v[26:27], -v[66:67]
	v_fma_f64 v[106:107], v[86:87], 2.0, -v[98:99]
	v_add_f64 v[86:87], v[0:1], -v[88:89]
	v_add_f64 v[88:89], v[2:3], -v[90:91]
	v_fma_f64 v[92:93], v[92:93], 2.0, -v[100:101]
	v_fma_f64 v[94:95], v[94:95], 2.0, -v[102:103]
	v_add_f64 v[60:61], v[28:29], -v[60:61]
	v_add_f64 v[62:63], v[30:31], -v[62:63]
	v_add_co_ci_u32_e64 v104, null, 0, 0, s0
	v_add_f64 v[56:57], v[32:33], -v[56:57]
	v_add_f64 v[58:59], v[34:35], -v[58:59]
	v_fma_f64 v[104:105], v[84:85], 2.0, -v[96:97]
	v_add_f64 v[52:53], v[36:37], -v[52:53]
	v_add_f64 v[54:55], v[38:39], -v[54:55]
	;; [unrolled: 1-line block ×4, first 2 shown]
	v_fma_f64 v[8:9], v[8:9], 2.0, -v[80:81]
	v_fma_f64 v[10:11], v[10:11], 2.0, -v[82:83]
	;; [unrolled: 1-line block ×11, first 2 shown]
	v_lshlrev_b32_e32 v44, 5, v185
	v_add_co_u32 v254, null, 0xa8, v185
	v_lshlrev_b32_e32 v124, 1, v185
	s_barrier
	buffer_gl0_inv
	v_lshlrev_b32_e32 v45, 5, v210
	ds_write_b128 v44, v[92:95]
	buffer_store_dword v44, off, s[36:39], 0 offset:452 ; 4-byte Folded Spill
	ds_write_b128 v44, v[100:103] offset:16
	v_lshlrev_b32_e32 v44, 5, v216
	v_fma_f64 v[24:25], v[24:25], 2.0, -v[64:65]
	v_fma_f64 v[26:27], v[26:27], 2.0, -v[66:67]
	;; [unrolled: 1-line block ×6, first 2 shown]
	v_add_co_u32 v253, null, 0xe0, v185
	ds_write_b128 v45, v[104:107]
	buffer_store_dword v45, off, s[36:39], 0 offset:456 ; 4-byte Folded Spill
	ds_write_b128 v45, v[96:99] offset:16
	v_lshlrev_b32_e32 v45, 5, v254
	ds_write_b128 v44, v[86:89] offset:16
	v_add_nc_u32_e32 v87, 0x230, v124
	v_fma_f64 v[36:37], v[36:37], 2.0, -v[52:53]
	v_fma_f64 v[38:39], v[38:39], 2.0, -v[54:55]
	v_fma_f64 v[2:3], v[46:47], 2.0, -v[6:7]
	v_fma_f64 v[40:41], v[40:41], 2.0, -v[108:109]
	v_fma_f64 v[42:43], v[42:43], 2.0, -v[110:111]
	s_load_dwordx2 s[2:3], s[4:5], 0x8
	ds_write_b128 v44, v[48:51]
	buffer_store_dword v44, off, s[36:39], 0 offset:460 ; 4-byte Folded Spill
	v_lshlrev_b32_e32 v44, 5, v253
	ds_write_b128 v45, v[8:11]
	v_add_nc_u32_e32 v89, 0x2a0, v124
	v_lshlrev_b32_e32 v8, 4, v124
	v_lshlrev_b32_e32 v9, 4, v87
	buffer_store_dword v45, off, s[36:39], 0 offset:464 ; 4-byte Folded Spill
	ds_write_b128 v45, v[80:83] offset:16
	ds_write_b128 v44, v[12:15]
	buffer_store_dword v44, off, s[36:39], 0 offset:468 ; 4-byte Folded Spill
	ds_write_b128 v44, v[76:79] offset:16
	v_add_nc_u32_e32 v90, 0x310, v124
	v_lshlrev_b32_e32 v11, 4, v89
	ds_write_b128 v8, v[16:19] offset:8960
	buffer_store_dword v9, off, s[36:39], 0 offset:476 ; 4-byte Folded Spill
	ds_write_b128 v9, v[72:75] offset:16
	ds_write_b128 v8, v[20:23] offset:10752
	v_or_b32_e32 v9, 0x1c0, v185
	v_add_nc_u32_e32 v91, 0x3f0, v124
	v_add_co_u32 v120, null, 0x2a0, v185
	v_lshlrev_b32_e32 v10, 4, v90
	buffer_store_dword v11, off, s[36:39], 0 offset:484 ; 4-byte Folded Spill
	ds_write_b128 v11, v[68:71] offset:16
	v_lshlrev_b32_e32 v11, 5, v9
	v_lshlrev_b32_e32 v92, 1, v9
	v_add_nc_u32_e32 v93, 0x460, v124
	v_lshlrev_b32_e32 v9, 4, v91
	v_add_nc_u32_e32 v94, 0x4d0, v124
	v_lshlrev_b32_e32 v84, 1, v210
	v_lshlrev_b32_e32 v85, 1, v216
	;; [unrolled: 1-line block ×4, first 2 shown]
	ds_write_b128 v8, v[24:27] offset:12544
	buffer_store_dword v10, off, s[36:39], 0 offset:472 ; 4-byte Folded Spill
	ds_write_b128 v10, v[64:67] offset:16
	ds_write_b128 v11, v[28:31]
	buffer_store_dword v11, off, s[36:39], 0 offset:480 ; 4-byte Folded Spill
	ds_write_b128 v11, v[60:63] offset:16
	ds_write_b128 v8, v[32:35] offset:16128
	v_lshlrev_b32_e32 v11, 4, v93
	buffer_store_dword v9, off, s[36:39], 0 offset:492 ; 4-byte Folded Spill
	ds_write_b128 v9, v[56:59] offset:16
	v_lshlrev_b32_e32 v10, 4, v94
	v_lshlrev_b32_e32 v9, 5, v120
	ds_write_b128 v8, v[36:39] offset:17920
	buffer_store_dword v11, off, s[36:39], 0 offset:496 ; 4-byte Folded Spill
	buffer_store_dword v9, off, s[36:39], 0 offset:828 ; 4-byte Folded Spill
	ds_write_b128 v11, v[52:55] offset:16
	ds_write_b128 v8, v[40:43] offset:19712
	buffer_store_dword v10, off, s[36:39], 0 offset:488 ; 4-byte Folded Spill
	ds_write_b128 v10, v[108:111] offset:16
	s_and_saveexec_b32 s0, vcc_lo
	s_cbranch_execz .LBB0_7
; %bb.6:
	v_lshlrev_b32_e32 v8, 5, v120
	ds_write_b128 v8, v[0:3]
	ds_write_b128 v8, v[4:7] offset:16
.LBB0_7:
	s_or_b32 exec_lo, exec_lo, s0
	s_waitcnt lgkmcnt(0)
	s_waitcnt_vscnt null, 0x0
	s_barrier
	buffer_gl0_inv
	ds_read_b128 v[52:55], v180
	ds_read_b128 v[48:51], v180 offset:896
	ds_read_b128 v[116:119], v180 offset:11200
	;; [unrolled: 1-line block ×23, first 2 shown]
	s_and_saveexec_b32 s0, vcc_lo
	s_cbranch_execz .LBB0_9
; %bb.8:
	ds_read_b128 v[0:3], v180 offset:10752
	ds_read_b128 v[4:7], v180 offset:21952
.LBB0_9:
	s_or_b32 exec_lo, exec_lo, s0
	v_and_b32_e32 v123, 1, v185
	v_lshlrev_b32_e32 v95, 4, v123
	global_load_dwordx4 v[112:115], v95, s[2:3]
	s_waitcnt vmcnt(0) lgkmcnt(0)
	s_barrier
	buffer_gl0_inv
	buffer_store_dword v123, off, s[36:39], 0 offset:820 ; 4-byte Folded Spill
	v_mul_f64 v[121:122], v[118:119], v[114:115]
	v_fma_f64 v[121:122], v[116:117], v[112:113], -v[121:122]
	v_mul_f64 v[116:117], v[116:117], v[114:115]
	v_fma_f64 v[116:117], v[118:119], v[112:113], v[116:117]
	v_mul_f64 v[118:119], v[106:107], v[114:115]
	v_fma_f64 v[118:119], v[104:105], v[112:113], -v[118:119]
	v_mul_f64 v[104:105], v[104:105], v[114:115]
	v_fma_f64 v[104:105], v[106:107], v[112:113], v[104:105]
	;; [unrolled: 4-line block ×6, first 2 shown]
	v_mul_f64 v[76:77], v[82:83], v[114:115]
	v_add_f64 v[78:79], v[34:35], -v[78:79]
	v_fma_f64 v[125:126], v[80:81], v[112:113], -v[76:77]
	v_mul_f64 v[76:77], v[80:81], v[114:115]
	v_fma_f64 v[34:35], v[34:35], 2.0, -v[78:79]
	v_add_f64 v[80:81], v[28:29], -v[125:126]
	v_fma_f64 v[82:83], v[82:83], v[112:113], v[76:77]
	v_mul_f64 v[76:77], v[70:71], v[114:115]
	v_fma_f64 v[28:29], v[28:29], 2.0, -v[80:81]
	v_add_f64 v[82:83], v[30:31], -v[82:83]
	v_fma_f64 v[127:128], v[68:69], v[112:113], -v[76:77]
	v_mul_f64 v[68:69], v[68:69], v[114:115]
	v_add_f64 v[76:77], v[32:33], -v[101:102]
	v_fma_f64 v[30:31], v[30:31], 2.0, -v[82:83]
	v_fma_f64 v[129:130], v[70:71], v[112:113], v[68:69]
	v_mul_f64 v[68:69], v[74:75], v[114:115]
	v_add_f64 v[70:71], v[42:43], -v[95:96]
	v_add_f64 v[95:96], v[24:25], -v[127:128]
	v_fma_f64 v[32:33], v[32:33], 2.0, -v[76:77]
	v_fma_f64 v[131:132], v[72:73], v[112:113], -v[68:69]
	v_mul_f64 v[68:69], v[72:73], v[114:115]
	v_add_f64 v[72:73], v[36:37], -v[97:98]
	v_add_f64 v[97:98], v[26:27], -v[129:130]
	v_fma_f64 v[42:43], v[42:43], 2.0, -v[70:71]
	v_fma_f64 v[24:25], v[24:25], 2.0, -v[95:96]
	v_fma_f64 v[133:134], v[74:75], v[112:113], v[68:69]
	v_mul_f64 v[68:69], v[62:63], v[114:115]
	v_add_f64 v[74:75], v[38:39], -v[99:100]
	v_add_f64 v[99:100], v[20:21], -v[131:132]
	v_fma_f64 v[36:37], v[36:37], 2.0, -v[72:73]
	v_fma_f64 v[26:27], v[26:27], 2.0, -v[97:98]
	v_add_f64 v[101:102], v[22:23], -v[133:134]
	v_fma_f64 v[135:136], v[60:61], v[112:113], -v[68:69]
	v_mul_f64 v[60:61], v[60:61], v[114:115]
	v_add_f64 v[68:69], v[40:41], -v[110:111]
	v_and_or_b32 v111, 0x7c, v124, v123
	v_fma_f64 v[38:39], v[38:39], 2.0, -v[74:75]
	v_fma_f64 v[20:21], v[20:21], 2.0, -v[99:100]
	v_lshlrev_b32_e32 v111, 4, v111
	buffer_store_dword v111, off, s[36:39], 0 offset:528 ; 4-byte Folded Spill
	v_fma_f64 v[22:23], v[22:23], 2.0, -v[101:102]
	v_fma_f64 v[137:138], v[62:63], v[112:113], v[60:61]
	v_mul_f64 v[60:61], v[66:67], v[114:115]
	v_add_f64 v[62:63], v[50:51], -v[104:105]
	v_add_f64 v[103:104], v[16:17], -v[135:136]
	v_fma_f64 v[40:41], v[40:41], 2.0, -v[68:69]
	v_fma_f64 v[139:140], v[64:65], v[112:113], -v[60:61]
	v_mul_f64 v[60:61], v[64:65], v[114:115]
	v_add_f64 v[64:65], v[44:45], -v[106:107]
	v_add_f64 v[105:106], v[18:19], -v[137:138]
	v_fma_f64 v[50:51], v[50:51], 2.0, -v[62:63]
	v_fma_f64 v[16:17], v[16:17], 2.0, -v[103:104]
	v_fma_f64 v[141:142], v[66:67], v[112:113], v[60:61]
	v_mul_f64 v[60:61], v[58:59], v[114:115]
	v_add_f64 v[66:67], v[46:47], -v[108:109]
	v_add_f64 v[107:108], v[12:13], -v[139:140]
	v_fma_f64 v[44:45], v[44:45], 2.0, -v[64:65]
	v_fma_f64 v[18:19], v[18:19], 2.0, -v[105:106]
	v_add_f64 v[109:110], v[14:15], -v[141:142]
	v_fma_f64 v[143:144], v[56:57], v[112:113], -v[60:61]
	v_mul_f64 v[56:57], v[56:57], v[114:115]
	v_add_f64 v[60:61], v[48:49], -v[118:119]
	v_fma_f64 v[46:47], v[46:47], 2.0, -v[66:67]
	v_fma_f64 v[12:13], v[12:13], 2.0, -v[107:108]
	;; [unrolled: 1-line block ×3, first 2 shown]
	v_fma_f64 v[145:146], v[58:59], v[112:113], v[56:57]
	v_mul_f64 v[56:57], v[6:7], v[114:115]
	v_add_f64 v[58:59], v[54:55], -v[116:117]
	v_add_f64 v[116:117], v[8:9], -v[143:144]
	v_fma_f64 v[48:49], v[48:49], 2.0, -v[60:61]
	v_add_f64 v[118:119], v[10:11], -v[145:146]
	v_fma_f64 v[147:148], v[4:5], v[112:113], -v[56:57]
	v_mul_f64 v[4:5], v[4:5], v[114:115]
	v_add_f64 v[56:57], v[52:53], -v[121:122]
	v_fma_f64 v[54:55], v[54:55], 2.0, -v[58:59]
	v_fma_f64 v[8:9], v[8:9], 2.0, -v[116:117]
	;; [unrolled: 1-line block ×3, first 2 shown]
	v_fma_f64 v[6:7], v[6:7], v[112:113], v[4:5]
	v_add_f64 v[4:5], v[0:1], -v[147:148]
	v_fma_f64 v[52:53], v[52:53], 2.0, -v[56:57]
	ds_write_b128 v111, v[56:59] offset:32
	v_and_or_b32 v56, 0xfc, v84, v123
	v_lshlrev_b32_e32 v57, 1, v120
	v_and_or_b32 v58, 0x1fc, v86, v123
	v_and_or_b32 v59, 0x3fc, v88, v123
	v_lshlrev_b32_e32 v120, 4, v56
	buffer_store_dword v57, off, s[36:39], 0 offset:4 ; 4-byte Folded Spill
	v_and_or_b32 v57, 0x1fc, v85, v123
	buffer_store_dword v120, off, s[36:39], 0 offset:544 ; 4-byte Folded Spill
	v_lshlrev_b32_e32 v121, 4, v57
	v_add_f64 v[6:7], v[2:3], -v[6:7]
	v_fma_f64 v[0:1], v[0:1], 2.0, -v[4:5]
	ds_write_b128 v111, v[52:55]
	v_and_or_b32 v52, 0x2fc, v87, v123
	v_and_or_b32 v53, 0x3fc, v89, v123
	;; [unrolled: 1-line block ×4, first 2 shown]
	ds_write_b128 v120, v[48:51]
	v_and_or_b32 v48, 0x7fc, v91, v123
	v_and_or_b32 v49, 0x4fc, v93, v123
	;; [unrolled: 1-line block ×3, first 2 shown]
	v_lshlrev_b32_e32 v111, 4, v58
	v_lshlrev_b32_e32 v58, 4, v59
	;; [unrolled: 1-line block ×9, first 2 shown]
	ds_write_b128 v120, v[60:63] offset:32
	ds_write_b128 v121, v[44:47]
	buffer_store_dword v121, off, s[36:39], 0 offset:548 ; 4-byte Folded Spill
	v_fma_f64 v[2:3], v[2:3], 2.0, -v[6:7]
	ds_write_b128 v121, v[64:67] offset:32
	ds_write_b128 v111, v[40:43]
	buffer_store_dword v111, off, s[36:39], 0 offset:540 ; 4-byte Folded Spill
	ds_write_b128 v111, v[68:71] offset:32
	ds_write_b128 v58, v[36:39]
	buffer_store_dword v58, off, s[36:39], 0 offset:536 ; 4-byte Folded Spill
	;; [unrolled: 3-line block ×9, first 2 shown]
	ds_write_b128 v48, v[116:119] offset:32
	s_and_saveexec_b32 s0, vcc_lo
	s_cbranch_execz .LBB0_11
; %bb.10:
	buffer_load_dword v8, off, s[36:39], 0 offset:4 ; 4-byte Folded Reload
	v_and_b32_e32 v9, 1, v185
	s_waitcnt vmcnt(0)
	v_and_or_b32 v8, 0x57c, v8, v9
	v_lshlrev_b32_e32 v8, 4, v8
	ds_write_b128 v8, v[0:3]
	ds_write_b128 v8, v[4:7] offset:32
.LBB0_11:
	s_or_b32 exec_lo, exec_lo, s0
	s_waitcnt lgkmcnt(0)
	s_waitcnt_vscnt null, 0x0
	s_barrier
	buffer_gl0_inv
	ds_read_b128 v[52:55], v180
	ds_read_b128 v[48:51], v180 offset:896
	ds_read_b128 v[120:123], v180 offset:11200
	;; [unrolled: 1-line block ×23, first 2 shown]
	s_and_saveexec_b32 s0, vcc_lo
	s_cbranch_execz .LBB0_13
; %bb.12:
	ds_read_b128 v[0:3], v180 offset:10752
	ds_read_b128 v[4:7], v180 offset:21952
.LBB0_13:
	s_or_b32 exec_lo, exec_lo, s0
	v_and_b32_e32 v151, 3, v185
	v_lshlrev_b32_e32 v95, 4, v151
	v_and_or_b32 v87, 0x2f8, v87, v151
	v_and_or_b32 v91, 0x7f8, v91, v151
	buffer_store_dword v151, off, s[36:39], 0 offset:824 ; 4-byte Folded Spill
	global_load_dwordx4 v[116:119], v95, s[2:3] offset:32
	s_waitcnt vmcnt(0) lgkmcnt(0)
	s_waitcnt_vscnt null, 0x0
	s_barrier
	buffer_gl0_inv
	v_mul_f64 v[125:126], v[122:123], v[118:119]
	v_fma_f64 v[125:126], v[120:121], v[116:117], -v[125:126]
	v_mul_f64 v[120:121], v[120:121], v[118:119]
	v_fma_f64 v[120:121], v[122:123], v[116:117], v[120:121]
	v_mul_f64 v[122:123], v[106:107], v[118:119]
	v_fma_f64 v[122:123], v[104:105], v[116:117], -v[122:123]
	v_mul_f64 v[104:105], v[104:105], v[118:119]
	v_fma_f64 v[104:105], v[106:107], v[116:117], v[104:105]
	;; [unrolled: 4-line block ×6, first 2 shown]
	v_mul_f64 v[76:77], v[82:83], v[118:119]
	v_add_f64 v[78:79], v[34:35], -v[78:79]
	v_fma_f64 v[127:128], v[80:81], v[116:117], -v[76:77]
	v_mul_f64 v[76:77], v[80:81], v[118:119]
	v_fma_f64 v[34:35], v[34:35], 2.0, -v[78:79]
	v_add_f64 v[80:81], v[28:29], -v[127:128]
	v_fma_f64 v[82:83], v[82:83], v[116:117], v[76:77]
	v_mul_f64 v[76:77], v[70:71], v[118:119]
	v_fma_f64 v[28:29], v[28:29], 2.0, -v[80:81]
	v_add_f64 v[82:83], v[30:31], -v[82:83]
	v_fma_f64 v[129:130], v[68:69], v[116:117], -v[76:77]
	v_mul_f64 v[68:69], v[68:69], v[118:119]
	v_add_f64 v[76:77], v[32:33], -v[101:102]
	v_fma_f64 v[30:31], v[30:31], 2.0, -v[82:83]
	v_fma_f64 v[131:132], v[70:71], v[116:117], v[68:69]
	v_mul_f64 v[68:69], v[74:75], v[118:119]
	v_add_f64 v[70:71], v[42:43], -v[95:96]
	v_add_f64 v[95:96], v[24:25], -v[129:130]
	v_fma_f64 v[32:33], v[32:33], 2.0, -v[76:77]
	v_fma_f64 v[133:134], v[72:73], v[116:117], -v[68:69]
	v_mul_f64 v[68:69], v[72:73], v[118:119]
	v_add_f64 v[72:73], v[36:37], -v[97:98]
	v_add_f64 v[97:98], v[26:27], -v[131:132]
	v_fma_f64 v[42:43], v[42:43], 2.0, -v[70:71]
	v_fma_f64 v[24:25], v[24:25], 2.0, -v[95:96]
	v_fma_f64 v[135:136], v[74:75], v[116:117], v[68:69]
	v_mul_f64 v[68:69], v[62:63], v[118:119]
	v_add_f64 v[74:75], v[38:39], -v[99:100]
	v_add_f64 v[99:100], v[20:21], -v[133:134]
	v_fma_f64 v[36:37], v[36:37], 2.0, -v[72:73]
	v_fma_f64 v[26:27], v[26:27], 2.0, -v[97:98]
	v_add_f64 v[101:102], v[22:23], -v[135:136]
	v_fma_f64 v[137:138], v[60:61], v[116:117], -v[68:69]
	v_mul_f64 v[60:61], v[60:61], v[118:119]
	v_add_f64 v[68:69], v[40:41], -v[110:111]
	v_fma_f64 v[38:39], v[38:39], 2.0, -v[74:75]
	v_fma_f64 v[20:21], v[20:21], 2.0, -v[99:100]
	v_lshlrev_b32_e32 v111, 4, v87
	v_fma_f64 v[22:23], v[22:23], 2.0, -v[101:102]
	v_fma_f64 v[139:140], v[62:63], v[116:117], v[60:61]
	v_mul_f64 v[60:61], v[66:67], v[118:119]
	v_add_f64 v[62:63], v[50:51], -v[104:105]
	v_add_f64 v[103:104], v[16:17], -v[137:138]
	v_fma_f64 v[40:41], v[40:41], 2.0, -v[68:69]
	v_fma_f64 v[141:142], v[64:65], v[116:117], -v[60:61]
	v_mul_f64 v[60:61], v[64:65], v[118:119]
	v_add_f64 v[64:65], v[44:45], -v[106:107]
	v_add_f64 v[105:106], v[18:19], -v[139:140]
	v_fma_f64 v[50:51], v[50:51], 2.0, -v[62:63]
	v_fma_f64 v[16:17], v[16:17], 2.0, -v[103:104]
	v_fma_f64 v[143:144], v[66:67], v[116:117], v[60:61]
	v_mul_f64 v[60:61], v[58:59], v[118:119]
	v_add_f64 v[66:67], v[46:47], -v[108:109]
	v_add_f64 v[107:108], v[12:13], -v[141:142]
	v_fma_f64 v[44:45], v[44:45], 2.0, -v[64:65]
	v_fma_f64 v[18:19], v[18:19], 2.0, -v[105:106]
	v_add_f64 v[109:110], v[14:15], -v[143:144]
	v_fma_f64 v[145:146], v[56:57], v[116:117], -v[60:61]
	v_mul_f64 v[56:57], v[56:57], v[118:119]
	v_add_f64 v[60:61], v[48:49], -v[122:123]
	v_fma_f64 v[46:47], v[46:47], 2.0, -v[66:67]
	v_fma_f64 v[12:13], v[12:13], 2.0, -v[107:108]
	;; [unrolled: 1-line block ×3, first 2 shown]
	v_fma_f64 v[147:148], v[58:59], v[116:117], v[56:57]
	v_mul_f64 v[56:57], v[6:7], v[118:119]
	v_add_f64 v[58:59], v[54:55], -v[120:121]
	v_add_f64 v[120:121], v[8:9], -v[145:146]
	v_fma_f64 v[48:49], v[48:49], 2.0, -v[60:61]
	v_add_f64 v[122:123], v[10:11], -v[147:148]
	v_fma_f64 v[149:150], v[4:5], v[116:117], -v[56:57]
	v_mul_f64 v[4:5], v[4:5], v[118:119]
	v_add_f64 v[56:57], v[52:53], -v[125:126]
	v_fma_f64 v[54:55], v[54:55], 2.0, -v[58:59]
	v_fma_f64 v[8:9], v[8:9], 2.0, -v[120:121]
	;; [unrolled: 1-line block ×3, first 2 shown]
	v_fma_f64 v[6:7], v[6:7], v[116:117], v[4:5]
	v_and_or_b32 v4, 0x78, v124, v151
	v_and_or_b32 v5, 0xf8, v84, v151
	v_fma_f64 v[52:53], v[52:53], 2.0, -v[56:57]
	v_and_or_b32 v84, 0x1f8, v85, v151
	v_and_or_b32 v85, 0x1f8, v86, v151
	v_lshlrev_b32_e32 v128, 4, v4
	v_lshlrev_b32_e32 v127, 4, v5
	v_add_f64 v[4:5], v[0:1], -v[149:150]
	v_and_or_b32 v86, 0x3f8, v88, v151
	v_and_or_b32 v88, 0x3f8, v89, v151
	v_and_or_b32 v89, 0x3f8, v90, v151
	v_and_or_b32 v90, 0x3f8, v92, v151
	v_and_or_b32 v92, 0x4f8, v93, v151
	v_and_or_b32 v93, 0x5f8, v94, v151
	v_lshlrev_b32_e32 v126, 4, v84
	v_lshlrev_b32_e32 v125, 4, v85
	;; [unrolled: 1-line block ×7, first 2 shown]
	v_add_f64 v[6:7], v[2:3], -v[6:7]
	v_lshlrev_b32_e32 v85, 4, v92
	v_lshlrev_b32_e32 v84, 4, v93
	ds_write_b128 v128, v[56:59] offset:64
	buffer_store_dword v128, off, s[36:39], 0 offset:600 ; 4-byte Folded Spill
	ds_write_b128 v128, v[52:55]
	ds_write_b128 v127, v[48:51]
	buffer_store_dword v127, off, s[36:39], 0 offset:596 ; 4-byte Folded Spill
	ds_write_b128 v127, v[60:63] offset:64
	ds_write_b128 v126, v[44:47]
	buffer_store_dword v126, off, s[36:39], 0 offset:588 ; 4-byte Folded Spill
	ds_write_b128 v126, v[64:67] offset:64
	;; [unrolled: 3-line block ×11, first 2 shown]
	s_and_saveexec_b32 s0, vcc_lo
	s_cbranch_execz .LBB0_15
; %bb.14:
	buffer_load_dword v8, off, s[36:39], 0 offset:4 ; 4-byte Folded Reload
	v_fma_f64 v[2:3], v[2:3], 2.0, -v[6:7]
	v_fma_f64 v[0:1], v[0:1], 2.0, -v[4:5]
	v_and_b32_e32 v9, 3, v185
	s_waitcnt vmcnt(0)
	v_and_or_b32 v8, 0x578, v8, v9
	v_lshlrev_b32_e32 v8, 4, v8
	ds_write_b128 v8, v[0:3]
	ds_write_b128 v8, v[4:7] offset:64
.LBB0_15:
	s_or_b32 exec_lo, exec_lo, s0
	v_and_b32_e32 v68, 7, v185
	s_waitcnt lgkmcnt(0)
	s_waitcnt_vscnt null, 0x0
	s_barrier
	buffer_gl0_inv
	s_mov_b32 s16, 0x134454ff
	v_lshlrev_b32_e32 v0, 6, v68
	s_mov_b32 s17, 0x3fee6f0e
	s_mov_b32 s5, 0xbfee6f0e
	;; [unrolled: 1-line block ×4, first 2 shown]
	s_clause 0x3
	global_load_dwordx4 v[108:111], v0, s[2:3] offset:96
	global_load_dwordx4 v[104:107], v0, s[2:3] offset:112
	;; [unrolled: 1-line block ×4, first 2 shown]
	ds_read_b128 v[28:31], v180 offset:4480
	ds_read_b128 v[24:27], v180 offset:8960
	;; [unrolled: 1-line block ×18, first 2 shown]
	s_mov_b32 s1, 0x3fe2cf23
	s_mov_b32 s15, 0xbfe2cf23
	;; [unrolled: 1-line block ×5, first 2 shown]
                                        ; implicit-def: $vgpr196_vgpr197
	s_waitcnt vmcnt(3) lgkmcnt(13)
	v_mul_f64 v[93:94], v[14:15], v[110:111]
	s_waitcnt vmcnt(2)
	v_mul_f64 v[83:84], v[24:25], v[106:107]
	s_waitcnt vmcnt(1)
	v_mul_f64 v[87:88], v[16:17], v[102:103]
	v_mul_f64 v[85:86], v[18:19], v[102:103]
	s_waitcnt vmcnt(0)
	v_mul_f64 v[89:90], v[2:3], v[98:99]
	v_mul_f64 v[91:92], v[0:1], v[98:99]
	;; [unrolled: 1-line block ×6, first 2 shown]
	s_waitcnt lgkmcnt(8)
	v_mul_f64 v[126:127], v[38:39], v[102:103]
	v_mul_f64 v[128:129], v[36:37], v[102:103]
	;; [unrolled: 1-line block ×4, first 2 shown]
	s_waitcnt lgkmcnt(1)
	v_mul_f64 v[130:131], v[71:72], v[110:111]
	v_mul_f64 v[132:133], v[69:70], v[110:111]
	v_fma_f64 v[93:94], v[12:13], v[108:109], -v[93:94]
	v_fma_f64 v[26:27], v[26:27], v[104:105], v[83:84]
	v_mul_f64 v[83:84], v[32:33], v[110:111]
	v_fma_f64 v[87:88], v[18:19], v[100:101], v[87:88]
	v_mul_f64 v[18:19], v[44:45], v[106:107]
	v_fma_f64 v[85:86], v[16:17], v[100:101], -v[85:86]
	v_mul_f64 v[16:17], v[46:47], v[106:107]
	v_fma_f64 v[89:90], v[0:1], v[96:97], -v[89:90]
	v_fma_f64 v[91:92], v[2:3], v[96:97], v[91:92]
	v_fma_f64 v[120:121], v[14:15], v[108:109], v[120:121]
	ds_read_b128 v[0:3], v180 offset:16128
	ds_read_b128 v[12:15], v180 offset:17024
	v_fma_f64 v[24:25], v[24:25], v[104:105], -v[81:82]
	v_mul_f64 v[81:82], v[34:35], v[110:111]
	v_fma_f64 v[28:29], v[28:29], v[108:109], -v[77:78]
	v_fma_f64 v[30:31], v[30:31], v[108:109], v[79:80]
	v_mul_f64 v[77:78], v[10:11], v[98:99]
	v_mul_f64 v[79:80], v[8:9], v[98:99]
	v_fma_f64 v[126:127], v[36:37], v[100:101], -v[126:127]
	v_fma_f64 v[36:37], v[38:39], v[100:101], v[128:129]
	v_mul_f64 v[38:39], v[58:59], v[98:99]
	v_fma_f64 v[20:21], v[20:21], v[104:105], -v[122:123]
	v_mul_f64 v[122:123], v[42:43], v[102:103]
	v_mul_f64 v[128:129], v[56:57], v[98:99]
	v_fma_f64 v[22:23], v[22:23], v[104:105], v[124:125]
	v_fma_f64 v[83:84], v[34:35], v[108:109], v[83:84]
	v_mul_f64 v[34:35], v[48:49], v[106:107]
	v_fma_f64 v[136:137], v[46:47], v[104:105], v[18:19]
	v_mul_f64 v[124:125], v[40:41], v[102:103]
	v_fma_f64 v[134:135], v[44:45], v[104:105], -v[16:17]
	s_waitcnt lgkmcnt(1)
	v_mul_f64 v[18:19], v[0:1], v[102:103]
	v_mul_f64 v[16:17], v[2:3], v[102:103]
	;; [unrolled: 1-line block ×3, first 2 shown]
	v_fma_f64 v[69:70], v[69:70], v[108:109], -v[130:131]
	v_fma_f64 v[71:72], v[71:72], v[108:109], v[132:133]
	v_fma_f64 v[81:82], v[32:33], v[108:109], -v[81:82]
	v_mul_f64 v[32:33], v[50:51], v[106:107]
	v_fma_f64 v[77:78], v[8:9], v[96:97], -v[77:78]
	v_fma_f64 v[79:80], v[10:11], v[96:97], v[79:80]
	ds_read_b128 v[8:11], v180 offset:21504
	v_fma_f64 v[56:57], v[56:57], v[96:97], -v[38:39]
	v_mul_f64 v[38:39], v[66:67], v[98:99]
	v_fma_f64 v[138:139], v[40:41], v[100:101], -v[122:123]
	v_mul_f64 v[40:41], v[64:65], v[98:99]
	v_fma_f64 v[58:59], v[58:59], v[96:97], v[128:129]
	v_fma_f64 v[150:151], v[50:51], v[104:105], v[34:35]
	v_mul_f64 v[34:35], v[52:53], v[106:107]
	v_fma_f64 v[140:141], v[42:43], v[100:101], v[124:125]
	v_mul_f64 v[42:43], v[75:76], v[110:111]
	v_fma_f64 v[154:155], v[2:3], v[100:101], v[18:19]
	s_waitcnt lgkmcnt(1)
	v_mul_f64 v[2:3], v[12:13], v[102:103]
	v_fma_f64 v[152:153], v[0:1], v[100:101], -v[16:17]
	v_mul_f64 v[0:1], v[14:15], v[102:103]
	v_fma_f64 v[75:76], v[75:76], v[108:109], v[44:45]
	v_add_f64 v[44:45], v[85:86], -v[89:90]
	v_fma_f64 v[148:149], v[48:49], v[104:105], -v[32:33]
	v_mul_f64 v[32:33], v[54:55], v[106:107]
	s_waitcnt lgkmcnt(0)
	v_mul_f64 v[16:17], v[10:11], v[98:99]
	v_mul_f64 v[18:19], v[8:9], v[98:99]
	v_add_f64 v[48:49], v[36:37], -v[79:80]
	v_add_f64 v[50:51], v[20:21], -v[93:94]
	v_fma_f64 v[156:157], v[64:65], v[96:97], -v[38:39]
	v_add_f64 v[38:39], v[91:92], -v[87:88]
	v_fma_f64 v[158:159], v[66:67], v[96:97], v[40:41]
	v_add_f64 v[40:41], v[87:88], -v[91:92]
	v_fma_f64 v[162:163], v[54:55], v[104:105], v[34:35]
	v_add_f64 v[34:35], v[30:31], v[91:92]
	v_fma_f64 v[73:74], v[73:74], v[108:109], -v[42:43]
	v_add_f64 v[42:43], v[89:90], -v[85:86]
	v_fma_f64 v[166:167], v[14:15], v[100:101], v[2:3]
	v_add_f64 v[14:15], v[26:27], v[87:88]
	v_fma_f64 v[164:165], v[12:13], v[100:101], -v[0:1]
	ds_read_b128 v[0:3], v180
	v_add_f64 v[12:13], v[24:25], v[85:86]
	v_add_f64 v[54:55], v[126:127], -v[77:78]
	v_fma_f64 v[160:161], v[52:53], v[104:105], -v[32:33]
	v_add_f64 v[32:33], v[28:29], v[89:90]
	v_fma_f64 v[168:169], v[8:9], v[96:97], -v[16:17]
	v_fma_f64 v[170:171], v[10:11], v[96:97], v[18:19]
	ds_read_b128 v[16:19], v180 offset:896
	v_add_f64 v[52:53], v[77:78], -v[126:127]
	s_waitcnt lgkmcnt(1)
	v_fma_f64 v[10:11], v[14:15], -0.5, v[2:3]
	v_fma_f64 v[14:15], v[34:35], -0.5, v[2:3]
	v_add_f64 v[2:3], v[2:3], v[30:31]
	v_fma_f64 v[8:9], v[12:13], -0.5, v[0:1]
	v_add_f64 v[34:35], v[30:31], -v[91:92]
	v_add_f64 v[54:55], v[50:51], v[54:55]
	v_fma_f64 v[12:13], v[32:33], -0.5, v[0:1]
	v_add_f64 v[0:1], v[0:1], v[28:29]
	v_add_f64 v[32:33], v[30:31], -v[26:27]
	v_add_f64 v[30:31], v[26:27], -v[30:31]
	v_add_f64 v[2:3], v[2:3], v[26:27]
	v_add_f64 v[26:27], v[26:27], -v[87:88]
	v_add_f64 v[0:1], v[0:1], v[24:25]
	v_add_f64 v[32:33], v[32:33], v[38:39]
	v_fma_f64 v[38:39], v[34:35], s[16:17], v[8:9]
	v_fma_f64 v[8:9], v[34:35], s[4:5], v[8:9]
	v_add_f64 v[30:31], v[30:31], v[40:41]
	v_add_f64 v[2:3], v[2:3], v[87:88]
	v_fma_f64 v[40:41], v[26:27], s[4:5], v[12:13]
	v_fma_f64 v[12:13], v[26:27], s[16:17], v[12:13]
	v_add_f64 v[87:88], v[81:82], -v[56:57]
	v_add_f64 v[0:1], v[0:1], v[85:86]
	v_fma_f64 v[38:39], v[26:27], s[0:1], v[38:39]
	v_fma_f64 v[26:27], v[26:27], s[14:15], v[8:9]
	v_add_f64 v[66:67], v[2:3], v[91:92]
	v_add_f64 v[2:3], v[28:29], -v[89:90]
	v_fma_f64 v[40:41], v[34:35], s[0:1], v[40:41]
	v_fma_f64 v[34:35], v[34:35], s[14:15], v[12:13]
	v_add_f64 v[64:65], v[0:1], v[89:90]
	v_add_f64 v[0:1], v[28:29], -v[24:25]
	v_add_f64 v[28:29], v[24:25], -v[28:29]
	;; [unrolled: 1-line block ×4, first 2 shown]
	v_fma_f64 v[8:9], v[2:3], s[4:5], v[10:11]
	v_fma_f64 v[10:11], v[2:3], s[16:17], v[10:11]
	v_add_f64 v[0:1], v[0:1], v[42:43]
	v_add_f64 v[28:29], v[28:29], v[44:45]
	v_fma_f64 v[42:43], v[24:25], s[16:17], v[14:15]
	v_fma_f64 v[14:15], v[24:25], s[4:5], v[14:15]
	v_fma_f64 v[44:45], v[24:25], s[14:15], v[8:9]
	v_fma_f64 v[24:25], v[24:25], s[0:1], v[10:11]
	v_fma_f64 v[8:9], v[0:1], s[18:19], v[38:39]
	v_fma_f64 v[12:13], v[28:29], s[18:19], v[40:41]
	v_fma_f64 v[42:43], v[2:3], s[14:15], v[42:43]
	v_fma_f64 v[46:47], v[2:3], s[0:1], v[14:15]
	v_fma_f64 v[0:1], v[0:1], s[18:19], v[26:27]
	v_add_f64 v[26:27], v[22:23], v[36:37]
	v_add_f64 v[40:41], v[120:121], -v[22:23]
	v_fma_f64 v[10:11], v[32:33], s[18:19], v[44:45]
	v_fma_f64 v[2:3], v[32:33], s[18:19], v[24:25]
	v_add_f64 v[24:25], v[20:21], v[126:127]
	v_fma_f64 v[32:33], v[28:29], s[18:19], v[34:35]
	v_add_f64 v[28:29], v[93:94], v[77:78]
	v_add_f64 v[44:45], v[22:23], -v[120:121]
	v_fma_f64 v[14:15], v[30:31], s[18:19], v[42:43]
	v_fma_f64 v[34:35], v[30:31], s[18:19], v[46:47]
	v_add_f64 v[30:31], v[120:121], v[79:80]
	s_waitcnt lgkmcnt(0)
	v_fma_f64 v[26:27], v[26:27], -0.5, v[18:19]
	v_add_f64 v[42:43], v[120:121], -v[79:80]
	v_add_f64 v[46:47], v[79:80], -v[36:37]
	v_fma_f64 v[24:25], v[24:25], -0.5, v[16:17]
	v_fma_f64 v[28:29], v[28:29], -0.5, v[16:17]
	v_add_f64 v[16:17], v[16:17], v[93:94]
	v_fma_f64 v[30:31], v[30:31], -0.5, v[18:19]
	v_add_f64 v[18:19], v[18:19], v[120:121]
	v_add_f64 v[16:17], v[16:17], v[20:21]
	;; [unrolled: 1-line block ×3, first 2 shown]
	v_add_f64 v[22:23], v[22:23], -v[36:37]
	v_add_f64 v[16:17], v[16:17], v[126:127]
	v_add_f64 v[18:19], v[18:19], v[36:37]
	;; [unrolled: 1-line block ×3, first 2 shown]
	v_add_f64 v[16:17], v[93:94], -v[20:21]
	v_add_f64 v[20:21], v[20:21], -v[126:127]
	v_add_f64 v[38:39], v[18:19], v[79:80]
	v_add_f64 v[18:19], v[93:94], -v[77:78]
	v_add_f64 v[77:78], v[44:45], v[48:49]
	v_fma_f64 v[44:45], v[22:23], s[4:5], v[28:29]
	v_fma_f64 v[28:29], v[22:23], s[16:17], v[28:29]
	v_add_f64 v[79:80], v[136:137], -v[140:141]
	v_add_f64 v[16:17], v[16:17], v[52:53]
	v_add_f64 v[52:53], v[40:41], v[46:47]
	v_fma_f64 v[40:41], v[42:43], s[16:17], v[24:25]
	v_fma_f64 v[24:25], v[42:43], s[4:5], v[24:25]
	;; [unrolled: 1-line block ×11, first 2 shown]
	v_add_f64 v[30:31], v[136:137], v[140:141]
	v_fma_f64 v[24:25], v[20:21], s[14:15], v[24:25]
	v_fma_f64 v[20:21], v[20:21], s[0:1], v[26:27]
	;; [unrolled: 1-line block ×5, first 2 shown]
	v_add_f64 v[16:17], v[81:82], -v[134:135]
	v_add_f64 v[22:23], v[58:59], -v[140:141]
	v_fma_f64 v[50:51], v[77:78], s[18:19], v[50:51]
	v_fma_f64 v[46:47], v[52:53], s[18:19], v[24:25]
	;; [unrolled: 1-line block ×4, first 2 shown]
	v_add_f64 v[20:21], v[56:57], -v[138:139]
	v_fma_f64 v[52:53], v[54:55], s[18:19], v[28:29]
	v_fma_f64 v[54:55], v[77:78], s[18:19], v[18:19]
	v_add_f64 v[18:19], v[83:84], -v[136:137]
	v_add_f64 v[26:27], v[134:135], v[138:139]
	v_add_f64 v[77:78], v[83:84], -v[58:59]
	v_add_f64 v[24:25], v[16:17], v[20:21]
	v_add_f64 v[28:29], v[18:19], v[22:23]
	ds_read_b128 v[16:19], v180 offset:1792
	ds_read_b128 v[20:23], v180 offset:2688
	s_waitcnt lgkmcnt(0)
	s_barrier
	buffer_gl0_inv
	v_fma_f64 v[26:27], v[26:27], -0.5, v[16:17]
	v_fma_f64 v[30:31], v[30:31], -0.5, v[18:19]
	v_fma_f64 v[85:86], v[77:78], s[16:17], v[26:27]
	v_fma_f64 v[26:27], v[77:78], s[4:5], v[26:27]
	;; [unrolled: 1-line block ×10, first 2 shown]
	v_add_f64 v[24:25], v[81:82], v[56:57]
	v_add_f64 v[26:27], v[83:84], v[58:59]
	v_fma_f64 v[122:123], v[28:29], s[18:19], v[91:92]
	v_fma_f64 v[126:127], v[28:29], s[18:19], v[30:31]
	v_add_f64 v[28:29], v[134:135], -v[81:82]
	v_add_f64 v[30:31], v[136:137], -v[83:84]
	v_fma_f64 v[24:25], v[24:25], -0.5, v[16:17]
	v_fma_f64 v[26:27], v[26:27], -0.5, v[18:19]
	v_add_f64 v[16:17], v[16:17], v[81:82]
	v_add_f64 v[18:19], v[18:19], v[83:84]
	v_add_f64 v[81:82], v[138:139], -v[56:57]
	v_add_f64 v[16:17], v[16:17], v[134:135]
	v_add_f64 v[18:19], v[18:19], v[136:137]
	v_add_f64 v[28:29], v[28:29], v[81:82]
	v_add_f64 v[16:17], v[16:17], v[138:139]
	v_add_f64 v[18:19], v[18:19], v[140:141]
	v_add_f64 v[128:129], v[16:17], v[56:57]
	v_add_f64 v[130:131], v[18:19], v[58:59]
	v_add_f64 v[16:17], v[140:141], -v[58:59]
	v_fma_f64 v[18:19], v[79:80], s[4:5], v[24:25]
	v_fma_f64 v[56:57], v[89:90], s[16:17], v[26:27]
	v_fma_f64 v[26:27], v[89:90], s[4:5], v[26:27]
	v_fma_f64 v[24:25], v[79:80], s[16:17], v[24:25]
	v_add_f64 v[58:59], v[69:70], -v[156:157]
	v_add_f64 v[16:17], v[30:31], v[16:17]
	v_fma_f64 v[18:19], v[77:78], s[0:1], v[18:19]
	v_fma_f64 v[30:31], v[87:88], s[14:15], v[56:57]
	;; [unrolled: 1-line block ×4, first 2 shown]
	v_add_f64 v[77:78], v[148:149], -v[152:153]
	v_fma_f64 v[132:133], v[28:29], s[18:19], v[18:19]
	v_fma_f64 v[134:135], v[16:17], s[18:19], v[30:31]
	v_fma_f64 v[138:139], v[16:17], s[18:19], v[26:27]
	v_add_f64 v[16:17], v[69:70], -v[148:149]
	v_add_f64 v[18:19], v[156:157], -v[152:153]
	v_fma_f64 v[136:137], v[28:29], s[18:19], v[24:25]
	v_add_f64 v[24:25], v[158:159], -v[154:155]
	v_add_f64 v[26:27], v[150:151], v[154:155]
	v_add_f64 v[28:29], v[71:72], -v[158:159]
	v_add_f64 v[30:31], v[150:151], -v[154:155]
	v_add_f64 v[16:17], v[16:17], v[18:19]
	v_add_f64 v[18:19], v[71:72], -v[150:151]
	v_fma_f64 v[26:27], v[26:27], -0.5, v[22:23]
	v_add_f64 v[18:19], v[18:19], v[24:25]
	v_add_f64 v[24:25], v[148:149], v[152:153]
	v_fma_f64 v[79:80], v[58:59], s[4:5], v[26:27]
	v_fma_f64 v[26:27], v[58:59], s[16:17], v[26:27]
	v_fma_f64 v[24:25], v[24:25], -0.5, v[20:21]
	v_fma_f64 v[79:80], v[77:78], s[14:15], v[79:80]
	v_fma_f64 v[26:27], v[77:78], s[0:1], v[26:27]
	v_fma_f64 v[56:57], v[28:29], s[16:17], v[24:25]
	v_fma_f64 v[24:25], v[28:29], s[4:5], v[24:25]
	v_fma_f64 v[142:143], v[18:19], s[18:19], v[79:80]
	v_fma_f64 v[146:147], v[18:19], s[18:19], v[26:27]
	v_add_f64 v[18:19], v[71:72], v[158:159]
	v_add_f64 v[26:27], v[150:151], -v[71:72]
	v_add_f64 v[79:80], v[166:167], -v[170:171]
	v_fma_f64 v[56:57], v[30:31], s[0:1], v[56:57]
	v_fma_f64 v[24:25], v[30:31], s[14:15], v[24:25]
	v_fma_f64 v[18:19], v[18:19], -0.5, v[22:23]
	v_add_f64 v[22:23], v[22:23], v[71:72]
	v_add_f64 v[71:72], v[160:161], -v[164:165]
	v_fma_f64 v[140:141], v[16:17], s[18:19], v[56:57]
	v_fma_f64 v[144:145], v[16:17], s[18:19], v[24:25]
	v_add_f64 v[16:17], v[69:70], v[156:157]
	v_add_f64 v[24:25], v[148:149], -v[69:70]
	v_add_f64 v[56:57], v[152:153], -v[156:157]
	v_add_f64 v[22:23], v[22:23], v[150:151]
	v_fma_f64 v[16:17], v[16:17], -0.5, v[20:21]
	v_add_f64 v[20:21], v[20:21], v[69:70]
	v_add_f64 v[24:25], v[24:25], v[56:57]
	;; [unrolled: 1-line block ×3, first 2 shown]
	v_add_f64 v[69:70], v[73:74], -v[168:169]
	v_add_f64 v[20:21], v[20:21], v[148:149]
	v_add_f64 v[150:151], v[22:23], v[158:159]
	v_fma_f64 v[22:23], v[30:31], s[4:5], v[16:17]
	v_fma_f64 v[16:17], v[30:31], s[16:17], v[16:17]
	;; [unrolled: 1-line block ×4, first 2 shown]
	v_add_f64 v[77:78], v[164:165], -v[168:169]
	v_add_f64 v[20:21], v[20:21], v[152:153]
	v_fma_f64 v[22:23], v[28:29], s[0:1], v[22:23]
	v_fma_f64 v[16:17], v[28:29], s[14:15], v[16:17]
	v_add_f64 v[28:29], v[75:76], -v[170:171]
	v_fma_f64 v[18:19], v[58:59], s[0:1], v[18:19]
	v_add_f64 v[148:149], v[20:21], v[156:157]
	v_add_f64 v[20:21], v[154:155], -v[158:159]
	v_fma_f64 v[56:57], v[24:25], s[18:19], v[22:23]
	v_fma_f64 v[152:153], v[24:25], s[18:19], v[16:17]
	v_add_f64 v[16:17], v[73:74], -v[160:161]
	v_add_f64 v[20:21], v[26:27], v[20:21]
	v_fma_f64 v[26:27], v[58:59], s[14:15], v[30:31]
	v_add_f64 v[30:31], v[162:163], -v[166:167]
	v_fma_f64 v[154:155], v[20:21], s[18:19], v[18:19]
	v_add_f64 v[18:19], v[168:169], -v[164:165]
	v_fma_f64 v[58:59], v[20:21], s[18:19], v[26:27]
	v_add_f64 v[20:21], v[16:17], v[18:19]
	v_add_f64 v[16:17], v[75:76], -v[162:163]
	v_add_f64 v[18:19], v[170:171], -v[166:167]
	v_add_f64 v[22:23], v[16:17], v[18:19]
	v_add_f64 v[16:17], v[160:161], v[164:165]
	v_fma_f64 v[24:25], v[16:17], -0.5, v[60:61]
	v_add_f64 v[16:17], v[162:163], v[166:167]
	v_fma_f64 v[26:27], v[16:17], -0.5, v[62:63]
	v_fma_f64 v[16:17], v[28:29], s[16:17], v[24:25]
	v_fma_f64 v[24:25], v[28:29], s[4:5], v[24:25]
	;; [unrolled: 1-line block ×10, first 2 shown]
	v_add_f64 v[24:25], v[73:74], v[168:169]
	v_fma_f64 v[18:19], v[22:23], s[18:19], v[18:19]
	v_fma_f64 v[22:23], v[22:23], s[18:19], v[26:27]
	v_add_f64 v[26:27], v[75:76], v[170:171]
	v_fma_f64 v[24:25], v[24:25], -0.5, v[60:61]
	v_add_f64 v[60:61], v[60:61], v[73:74]
	v_add_f64 v[73:74], v[160:161], -v[73:74]
	v_fma_f64 v[26:27], v[26:27], -0.5, v[62:63]
	v_add_f64 v[62:63], v[62:63], v[75:76]
	v_add_f64 v[75:76], v[162:163], -v[75:76]
	v_fma_f64 v[81:82], v[30:31], s[4:5], v[24:25]
	v_fma_f64 v[24:25], v[30:31], s[16:17], v[24:25]
	v_add_f64 v[60:61], v[60:61], v[160:161]
	v_fma_f64 v[30:31], v[71:72], s[16:17], v[26:27]
	v_fma_f64 v[26:27], v[71:72], s[4:5], v[26:27]
	v_add_f64 v[62:63], v[62:63], v[162:163]
	v_add_f64 v[71:72], v[73:74], v[77:78]
	;; [unrolled: 1-line block ×3, first 2 shown]
	v_fma_f64 v[75:76], v[28:29], s[0:1], v[81:82]
	v_fma_f64 v[28:29], v[28:29], s[14:15], v[24:25]
	v_add_f64 v[60:61], v[60:61], v[164:165]
	v_fma_f64 v[30:31], v[69:70], s[14:15], v[30:31]
	v_fma_f64 v[69:70], v[69:70], s[0:1], v[26:27]
	v_add_f64 v[62:63], v[62:63], v[166:167]
	v_cmp_gt_u16_e64 s0, 32, v185
	v_fma_f64 v[24:25], v[71:72], s[18:19], v[75:76]
	v_fma_f64 v[28:29], v[71:72], s[18:19], v[28:29]
	v_add_f64 v[60:61], v[60:61], v[168:169]
	v_fma_f64 v[26:27], v[73:74], s[18:19], v[30:31]
	v_fma_f64 v[30:31], v[73:74], s[18:19], v[69:70]
	v_lshrrev_b32_e32 v69, 3, v185
	v_add_f64 v[62:63], v[62:63], v[170:171]
	v_mul_u32_u24_e32 v69, 40, v69
	v_or_b32_e32 v69, v69, v68
	v_lshlrev_b32_e32 v71, 4, v69
	ds_write_b128 v71, v[64:67]
	v_lshrrev_b32_e32 v64, 3, v210
	v_lshrrev_b32_e32 v65, 3, v216
	;; [unrolled: 1-line block ×4, first 2 shown]
	ds_write_b128 v71, v[8:11] offset:128
	ds_write_b128 v71, v[12:15] offset:256
	;; [unrolled: 1-line block ×3, first 2 shown]
	v_mul_u32_u24_e32 v64, 40, v64
	v_mul_u32_u24_e32 v65, 40, v65
	;; [unrolled: 1-line block ×4, first 2 shown]
	buffer_store_dword v71, off, s[36:39], 0 offset:592 ; 4-byte Folded Spill
	v_or_b32_e32 v69, v64, v68
	v_or_b32_e32 v70, v65, v68
	;; [unrolled: 1-line block ×4, first 2 shown]
	v_lshlrev_b32_e32 v69, 4, v69
	v_lshlrev_b32_e32 v68, 4, v70
	;; [unrolled: 1-line block ×4, first 2 shown]
	ds_write_b128 v71, v[0:3] offset:512
	ds_write_b128 v69, v[36:39]
	ds_write_b128 v69, v[44:47] offset:128
	ds_write_b128 v69, v[48:51] offset:256
	ds_write_b128 v69, v[52:55] offset:384
	buffer_store_dword v69, off, s[36:39], 0 offset:616 ; 4-byte Folded Spill
	ds_write_b128 v69, v[40:43] offset:512
	ds_write_b128 v68, v[128:131]
	ds_write_b128 v68, v[120:123] offset:128
	ds_write_b128 v68, v[132:135] offset:256
	ds_write_b128 v68, v[136:139] offset:384
	buffer_store_dword v68, off, s[36:39], 0 offset:612 ; 4-byte Folded Spill
	;; [unrolled: 6-line block ×4, first 2 shown]
	ds_write_b128 v64, v[20:23] offset:512
	s_waitcnt lgkmcnt(0)
	s_waitcnt_vscnt null, 0x0
	s_barrier
	buffer_gl0_inv
	ds_read_b128 v[40:43], v180
	ds_read_b128 v[36:39], v180 offset:896
	ds_read_b128 v[12:15], v180 offset:6400
	;; [unrolled: 1-line block ×20, first 2 shown]
                                        ; implicit-def: $vgpr52_vgpr53
	s_and_saveexec_b32 s1, s0
	s_cbranch_execz .LBB0_17
; %bb.16:
	ds_read_b128 v[16:19], v180 offset:2688
	ds_read_b128 v[24:27], v180 offset:5888
	;; [unrolled: 1-line block ×7, first 2 shown]
.LBB0_17:
	s_or_b32 exec_lo, exec_lo, s1
	v_subrev_nc_u32_e32 v0, 40, v185
	v_cmp_gt_u16_e64 s1, 40, v185
	s_mov_b32 s4, 0xaaaaaaaa
	s_mov_b32 s5, 0xbff2aaaa
	;; [unrolled: 1-line block ×4, first 2 shown]
	v_cndmask_b32_e64 v181, v0, v185, s1
	s_mov_b32 s21, 0x3febfeb5
	s_mov_b32 s25, 0x3fe948f6
	;; [unrolled: 1-line block ×4, first 2 shown]
	v_mul_i32_i24_e32 v0, 0x60, v181
	v_mul_hi_i32_i24_e32 v1, 0x60, v181
	s_mov_b32 s28, 0xb247c609
	s_mov_b32 s17, 0x3fac98ee
	;; [unrolled: 1-line block ×3, first 2 shown]
	v_add_co_u32 v56, s1, s2, v0
	v_add_co_ci_u32_e64 v57, s1, s3, v1, s1
	v_cmp_lt_u16_e64 s1, 39, v185
	s_mov_b32 s27, 0xbfe77f67
	s_clause 0x1
	global_load_dwordx4 v[60:63], v[56:57], off offset:608
	global_load_dwordx4 v[0:3], v[56:57], off offset:624
	s_mov_b32 s29, 0x3fd5d0dc
	s_mov_b32 s31, 0xbfd5d0dc
	;; [unrolled: 1-line block ×8, first 2 shown]
	s_waitcnt vmcnt(1) lgkmcnt(12)
	v_mul_f64 v[58:59], v[178:179], v[62:63]
	v_fma_f64 v[78:79], v[176:177], v[60:61], -v[58:59]
	v_mul_f64 v[58:59], v[176:177], v[62:63]
	buffer_store_dword v60, off, s[36:39], 0 offset:620 ; 4-byte Folded Spill
	buffer_store_dword v61, off, s[36:39], 0 offset:624 ; 4-byte Folded Spill
	;; [unrolled: 1-line block ×4, first 2 shown]
	s_clause 0x1
	global_load_dwordx4 v[232:235], v[56:57], off offset:640
	global_load_dwordx4 v[236:239], v[56:57], off offset:656
	v_fma_f64 v[76:77], v[178:179], v[60:61], v[58:59]
	s_waitcnt vmcnt(2)
	v_mul_f64 v[58:59], v[14:15], v[2:3]
	v_fma_f64 v[90:91], v[12:13], v[0:1], -v[58:59]
	v_mul_f64 v[12:13], v[12:13], v[2:3]
	v_fma_f64 v[88:89], v[14:15], v[0:1], v[12:13]
	s_waitcnt vmcnt(1) lgkmcnt(8)
	v_mul_f64 v[12:13], v[174:175], v[234:235]
	v_fma_f64 v[138:139], v[172:173], v[232:233], -v[12:13]
	v_mul_f64 v[12:13], v[172:173], v[234:235]
	v_fma_f64 v[136:137], v[174:175], v[232:233], v[12:13]
	s_waitcnt vmcnt(0)
	v_mul_f64 v[12:13], v[10:11], v[238:239]
	v_fma_f64 v[202:203], v[8:9], v[236:237], -v[12:13]
	v_mul_f64 v[8:9], v[8:9], v[238:239]
	v_fma_f64 v[200:201], v[10:11], v[236:237], v[8:9]
	s_clause 0x1
	global_load_dwordx4 v[8:11], v[56:57], off offset:672
	global_load_dwordx4 v[12:15], v[56:57], off offset:688
	v_add_f64 v[172:173], v[136:137], v[200:201]
	s_waitcnt vmcnt(1) lgkmcnt(4)
	v_mul_f64 v[56:57], v[170:171], v[10:11]
	v_fma_f64 v[206:207], v[168:169], v[8:9], -v[56:57]
	v_mul_f64 v[56:57], v[168:169], v[10:11]
	v_fma_f64 v[204:205], v[170:171], v[8:9], v[56:57]
	s_waitcnt vmcnt(0)
	v_mul_f64 v[56:57], v[166:167], v[14:15]
	v_add_f64 v[170:171], v[88:89], v[204:205]
	v_fma_f64 v[208:209], v[164:165], v[12:13], -v[56:57]
	v_mul_f64 v[56:57], v[164:165], v[14:15]
	v_fma_f64 v[164:165], v[166:167], v[12:13], v[56:57]
	v_and_b32_e32 v56, 0xff, v210
	v_mul_lo_u16 v56, 0xcd, v56
	v_lshrrev_b16 v166, 13, v56
	v_mul_lo_u16 v56, v166, 40
	v_sub_nc_u16 v56, v210, v56
	v_add_f64 v[168:169], v[76:77], v[164:165]
	v_and_b32_e32 v167, 0xff, v56
	v_mad_u64_u32 v[56:57], null, 0x60, v167, s[2:3]
	s_clause 0x1
	global_load_dwordx4 v[64:67], v[56:57], off offset:608
	global_load_dwordx4 v[72:75], v[56:57], off offset:624
	s_waitcnt vmcnt(1)
	v_mul_f64 v[58:59], v[162:163], v[66:67]
	v_fma_f64 v[62:63], v[160:161], v[64:65], -v[58:59]
	v_mul_f64 v[58:59], v[160:161], v[66:67]
	buffer_store_dword v64, off, s[36:39], 0 offset:784 ; 4-byte Folded Spill
	buffer_store_dword v65, off, s[36:39], 0 offset:788 ; 4-byte Folded Spill
	;; [unrolled: 1-line block ×4, first 2 shown]
	v_add_f64 v[160:161], v[138:139], v[202:203]
	v_fma_f64 v[60:61], v[162:163], v[64:65], v[58:59]
	s_waitcnt vmcnt(0)
	v_mul_f64 v[58:59], v[154:155], v[74:75]
	v_fma_f64 v[70:71], v[152:153], v[72:73], -v[58:59]
	v_mul_f64 v[58:59], v[152:153], v[74:75]
	buffer_store_dword v72, off, s[36:39], 0 offset:800 ; 4-byte Folded Spill
	buffer_store_dword v73, off, s[36:39], 0 offset:804 ; 4-byte Folded Spill
	;; [unrolled: 1-line block ×4, first 2 shown]
	v_fma_f64 v[68:69], v[154:155], v[72:73], v[58:59]
	s_clause 0x1
	global_load_dwordx4 v[72:75], v[56:57], off offset:640
	global_load_dwordx4 v[64:67], v[56:57], off offset:656
	s_waitcnt vmcnt(1)
	v_mul_f64 v[58:59], v[158:159], v[74:75]
	v_fma_f64 v[86:87], v[156:157], v[72:73], -v[58:59]
	v_mul_f64 v[58:59], v[156:157], v[74:75]
	buffer_store_dword v72, off, s[36:39], 0 offset:768 ; 4-byte Folded Spill
	buffer_store_dword v73, off, s[36:39], 0 offset:772 ; 4-byte Folded Spill
	;; [unrolled: 1-line block ×4, first 2 shown]
	v_fma_f64 v[82:83], v[158:159], v[72:73], v[58:59]
	s_waitcnt vmcnt(0)
	v_mul_f64 v[58:59], v[146:147], v[66:67]
	v_add_f64 v[158:159], v[90:91], v[206:207]
	v_add_f64 v[90:91], v[90:91], -v[206:207]
	v_fma_f64 v[94:95], v[144:145], v[64:65], -v[58:59]
	v_mul_f64 v[58:59], v[144:145], v[66:67]
	buffer_store_dword v64, off, s[36:39], 0 offset:736 ; 4-byte Folded Spill
	buffer_store_dword v65, off, s[36:39], 0 offset:740 ; 4-byte Folded Spill
	;; [unrolled: 1-line block ×4, first 2 shown]
	v_add_f64 v[182:183], v[86:87], v[94:95]
	v_add_f64 v[86:87], v[94:95], -v[86:87]
	v_fma_f64 v[92:93], v[146:147], v[64:65], v[58:59]
	s_clause 0x1
	global_load_dwordx4 v[64:67], v[56:57], off offset:672
	global_load_dwordx4 v[192:195], v[56:57], off offset:688
	v_add_f64 v[211:212], v[82:83], v[92:93]
	v_add_f64 v[82:83], v[92:93], -v[82:83]
	s_waitcnt vmcnt(1) lgkmcnt(2)
	v_mul_f64 v[56:57], v[150:151], v[66:67]
	v_fma_f64 v[146:147], v[148:149], v[64:65], -v[56:57]
	v_mul_f64 v[56:57], v[148:149], v[66:67]
	buffer_store_dword v64, off, s[36:39], 0 offset:752 ; 4-byte Folded Spill
	buffer_store_dword v65, off, s[36:39], 0 offset:756 ; 4-byte Folded Spill
	;; [unrolled: 1-line block ×4, first 2 shown]
	v_add_f64 v[178:179], v[70:71], v[146:147]
	v_add_f64 v[70:71], v[70:71], -v[146:147]
	v_fma_f64 v[144:145], v[150:151], v[64:65], v[56:57]
	s_waitcnt vmcnt(0)
	v_mul_f64 v[56:57], v[142:143], v[194:195]
	v_fma_f64 v[148:149], v[140:141], v[192:193], -v[56:57]
	v_mul_f64 v[56:57], v[140:141], v[194:195]
	v_add_f64 v[176:177], v[62:63], v[148:149]
	v_fma_f64 v[140:141], v[142:143], v[192:193], v[56:57]
	v_and_b32_e32 v56, 0xff, v216
	v_add_f64 v[94:95], v[62:63], -v[148:149]
	v_add_f64 v[62:63], v[68:69], -v[144:145]
	v_mul_lo_u16 v56, 0xcd, v56
	v_lshrrev_b16 v142, 13, v56
	v_mul_lo_u16 v56, v142, 40
	v_sub_nc_u16 v56, v216, v56
	v_add_f64 v[92:93], v[60:61], -v[140:141]
	v_add_f64 v[148:149], v[70:71], -v[94:95]
	v_and_b32_e32 v143, 0xff, v56
	v_mad_u64_u32 v[150:151], null, 0x60, v143, s[2:3]
	s_clause 0x1
	global_load_dwordx4 v[64:67], v[150:151], off offset:608
	global_load_dwordx4 v[72:75], v[150:151], off offset:624
	s_waitcnt vmcnt(1)
	v_mul_f64 v[56:57], v[134:135], v[66:67]
	v_fma_f64 v[58:59], v[132:133], v[64:65], -v[56:57]
	v_mul_f64 v[56:57], v[132:133], v[66:67]
	buffer_store_dword v64, off, s[36:39], 0 offset:704 ; 4-byte Folded Spill
	buffer_store_dword v65, off, s[36:39], 0 offset:708 ; 4-byte Folded Spill
	;; [unrolled: 1-line block ×4, first 2 shown]
	v_fma_f64 v[56:57], v[134:135], v[64:65], v[56:57]
	s_waitcnt vmcnt(0)
	v_mul_f64 v[64:65], v[130:131], v[74:75]
	v_fma_f64 v[66:67], v[128:129], v[72:73], -v[64:65]
	v_mul_f64 v[64:65], v[128:129], v[74:75]
	buffer_store_dword v72, off, s[36:39], 0 offset:672 ; 4-byte Folded Spill
	buffer_store_dword v73, off, s[36:39], 0 offset:676 ; 4-byte Folded Spill
	;; [unrolled: 1-line block ×4, first 2 shown]
	v_fma_f64 v[64:65], v[130:131], v[72:73], v[64:65]
	s_clause 0x1
	global_load_dwordx4 v[132:135], v[150:151], off offset:640
	global_load_dwordx4 v[128:131], v[150:151], off offset:656
	s_waitcnt vmcnt(1)
	v_mul_f64 v[72:73], v[126:127], v[134:135]
	s_waitcnt vmcnt(0)
	v_mul_f64 v[80:81], v[122:123], v[130:131]
	v_fma_f64 v[74:75], v[124:125], v[132:133], -v[72:73]
	v_mul_f64 v[72:73], v[124:125], v[134:135]
	buffer_store_dword v132, off, s[36:39], 0 offset:656 ; 4-byte Folded Spill
	buffer_store_dword v133, off, s[36:39], 0 offset:660 ; 4-byte Folded Spill
	buffer_store_dword v134, off, s[36:39], 0 offset:664 ; 4-byte Folded Spill
	buffer_store_dword v135, off, s[36:39], 0 offset:668 ; 4-byte Folded Spill
	v_fma_f64 v[84:85], v[120:121], v[128:129], -v[80:81]
	v_mul_f64 v[80:81], v[120:121], v[130:131]
	buffer_store_dword v128, off, s[36:39], 0 offset:640 ; 4-byte Folded Spill
	buffer_store_dword v129, off, s[36:39], 0 offset:644 ; 4-byte Folded Spill
	buffer_store_dword v130, off, s[36:39], 0 offset:648 ; 4-byte Folded Spill
	buffer_store_dword v131, off, s[36:39], 0 offset:652 ; 4-byte Folded Spill
	v_cndmask_b32_e64 v135, 0, 0x118, s1
	v_add_lshl_u32 v188, v181, v135, 4
	v_add_f64 v[135:136], v[200:201], -v[136:137]
	v_add_f64 v[200:201], v[170:171], -v[168:169]
	v_add_f64 v[221:222], v[74:75], v[84:85]
	v_add_f64 v[74:75], v[84:85], -v[74:75]
	v_fma_f64 v[72:73], v[126:127], v[132:133], v[72:73]
	v_add_f64 v[133:134], v[78:79], v[208:209]
	v_fma_f64 v[80:81], v[122:123], v[128:129], v[80:81]
	s_clause 0x1
	global_load_dwordx4 v[124:127], v[150:151], off offset:672
	global_load_dwordx4 v[128:131], v[150:151], off offset:688
	v_add_f64 v[229:230], v[72:73], v[80:81]
	v_add_f64 v[72:73], v[80:81], -v[72:73]
	s_waitcnt vmcnt(1) lgkmcnt(1)
	v_mul_f64 v[120:121], v[50:51], v[126:127]
	v_fma_f64 v[122:123], v[48:49], v[124:125], -v[120:121]
	v_mul_f64 v[48:49], v[48:49], v[126:127]
	buffer_store_dword v124, off, s[36:39], 0 offset:688 ; 4-byte Folded Spill
	buffer_store_dword v125, off, s[36:39], 0 offset:692 ; 4-byte Folded Spill
	;; [unrolled: 1-line block ×4, first 2 shown]
	v_add_f64 v[219:220], v[66:67], v[122:123]
	v_add_f64 v[66:67], v[66:67], -v[122:123]
	v_fma_f64 v[120:121], v[50:51], v[124:125], v[48:49]
	s_waitcnt vmcnt(0) lgkmcnt(0)
	v_mul_f64 v[48:49], v[46:47], v[130:131]
	v_add_f64 v[227:228], v[64:65], v[120:121]
	v_fma_f64 v[126:127], v[44:45], v[128:129], -v[48:49]
	v_mul_f64 v[44:45], v[44:45], v[130:131]
	buffer_store_dword v128, off, s[36:39], 0 offset:720 ; 4-byte Folded Spill
	buffer_store_dword v129, off, s[36:39], 0 offset:724 ; 4-byte Folded Spill
	;; [unrolled: 1-line block ×4, first 2 shown]
	v_add_f64 v[122:123], v[229:230], -v[227:228]
	v_add_f64 v[217:218], v[58:59], v[126:127]
	v_add_f64 v[84:85], v[219:220], -v[217:218]
	v_fma_f64 v[124:125], v[46:47], v[128:129], v[44:45]
	v_and_b32_e32 v44, 0xff, v254
	v_mul_lo_u16 v44, 0xcd, v44
	v_lshrrev_b16 v44, 13, v44
	v_mul_lo_u16 v44, v44, 40
	v_sub_nc_u16 v44, v254, v44
	v_add_f64 v[225:226], v[56:57], v[124:125]
	v_add_f64 v[80:81], v[56:57], -v[124:125]
	v_add_f64 v[56:57], v[74:75], v[66:67]
	v_and_b32_e32 v128, 0xff, v44
	buffer_store_dword v44, off, s[36:39], 0 offset:832 ; 4-byte Folded Spill
	v_mad_u64_u32 v[48:49], null, 0x60, v128, s[2:3]
	s_clause 0x1
	global_load_dwordx4 v[129:132], v[48:49], off offset:608
	global_load_dwordx4 v[150:153], v[48:49], off offset:624
	s_waitcnt vmcnt(1)
	v_mul_f64 v[44:45], v[26:27], v[131:132]
	v_fma_f64 v[44:45], v[24:25], v[129:130], -v[44:45]
	v_mul_f64 v[24:25], v[24:25], v[131:132]
	buffer_store_dword v129, off, s[36:39], 0 offset:836 ; 4-byte Folded Spill
	buffer_store_dword v130, off, s[36:39], 0 offset:840 ; 4-byte Folded Spill
	;; [unrolled: 1-line block ×4, first 2 shown]
	v_fma_f64 v[24:25], v[26:27], v[129:130], v[24:25]
	s_waitcnt vmcnt(0)
	v_mul_f64 v[26:27], v[30:31], v[152:153]
	v_fma_f64 v[46:47], v[28:29], v[150:151], -v[26:27]
	v_mul_f64 v[26:27], v[28:29], v[152:153]
	buffer_store_dword v150, off, s[36:39], 0 offset:852 ; 4-byte Folded Spill
	buffer_store_dword v151, off, s[36:39], 0 offset:856 ; 4-byte Folded Spill
	;; [unrolled: 1-line block ×4, first 2 shown]
	v_fma_f64 v[26:27], v[30:31], v[150:151], v[26:27]
	s_clause 0x1
	global_load_dwordx4 v[129:132], v[48:49], off offset:640
	global_load_dwordx4 v[150:153], v[48:49], off offset:656
	s_waitcnt vmcnt(1)
	v_mul_f64 v[28:29], v[22:23], v[131:132]
	v_fma_f64 v[28:29], v[20:21], v[129:130], -v[28:29]
	v_mul_f64 v[20:21], v[20:21], v[131:132]
	buffer_store_dword v129, off, s[36:39], 0 offset:868 ; 4-byte Folded Spill
	buffer_store_dword v130, off, s[36:39], 0 offset:872 ; 4-byte Folded Spill
	;; [unrolled: 1-line block ×4, first 2 shown]
	v_fma_f64 v[20:21], v[22:23], v[129:130], v[20:21]
	s_waitcnt vmcnt(0)
	v_mul_f64 v[22:23], v[6:7], v[152:153]
	v_fma_f64 v[22:23], v[4:5], v[150:151], -v[22:23]
	v_mul_f64 v[4:5], v[4:5], v[152:153]
	buffer_store_dword v150, off, s[36:39], 0 offset:884 ; 4-byte Folded Spill
	buffer_store_dword v151, off, s[36:39], 0 offset:888 ; 4-byte Folded Spill
	;; [unrolled: 1-line block ×4, first 2 shown]
	v_fma_f64 v[4:5], v[6:7], v[150:151], v[4:5]
	s_clause 0x1
	global_load_dwordx4 v[129:132], v[48:49], off offset:672
	global_load_dwordx4 v[150:153], v[48:49], off offset:688
	s_waitcnt vmcnt(1)
	v_mul_f64 v[6:7], v[54:55], v[131:132]
	s_waitcnt vmcnt(0)
	v_mul_f64 v[48:49], v[198:199], v[152:153]
	v_mul_f64 v[50:51], v[196:197], v[152:153]
	v_fma_f64 v[30:31], v[52:53], v[129:130], -v[6:7]
	v_mul_f64 v[6:7], v[52:53], v[131:132]
	buffer_store_dword v129, off, s[36:39], 0 offset:900 ; 4-byte Folded Spill
	buffer_store_dword v130, off, s[36:39], 0 offset:904 ; 4-byte Folded Spill
	;; [unrolled: 1-line block ×4, first 2 shown]
	v_fma_f64 v[48:49], v[196:197], v[150:151], -v[48:49]
	buffer_store_dword v150, off, s[36:39], 0 offset:916 ; 4-byte Folded Spill
	buffer_store_dword v151, off, s[36:39], 0 offset:920 ; 4-byte Folded Spill
	;; [unrolled: 1-line block ×4, first 2 shown]
	v_add_f64 v[52:53], v[158:159], v[133:134]
	s_waitcnt_vscnt null, 0x0
	s_barrier
	buffer_gl0_inv
	v_add_f64 v[196:197], v[60:61], v[140:141]
	v_add_f64 v[60:61], v[86:87], v[70:71]
	v_add_f64 v[162:163], v[160:161], v[52:53]
	v_add_f64 v[52:53], v[170:171], v[168:169]
	v_add_f64 v[170:171], v[172:173], -v[170:171]
	v_add_f64 v[174:175], v[172:173], v[52:53]
	v_add_f64 v[131:132], v[42:43], v[174:175]
	v_fma_f64 v[174:175], v[174:175], s[4:5], v[131:132]
	v_fma_f64 v[6:7], v[54:55], v[129:130], v[6:7]
	v_add_f64 v[129:130], v[40:41], v[162:163]
	v_fma_f64 v[50:51], v[198:199], v[150:151], v[50:51]
	v_add_f64 v[40:41], v[178:179], v[176:177]
	v_add_f64 v[198:199], v[68:69], v[144:145]
	v_add_f64 v[68:69], v[86:87], -v[70:71]
	v_add_f64 v[144:145], v[182:183], -v[178:179]
	v_add_f64 v[70:71], v[82:83], v[62:63]
	v_add_f64 v[86:87], v[94:95], -v[86:87]
	v_add_f64 v[54:55], v[20:21], v[4:5]
	;; [unrolled: 2-line block ×3, first 2 shown]
	ds_write_b128 v188, v[129:132]
	v_add_f64 v[131:132], v[78:79], -v[208:209]
	v_fma_f64 v[162:163], v[162:163], s[4:5], v[129:130]
	v_add_f64 v[129:130], v[202:203], -v[138:139]
	v_add_f64 v[78:79], v[88:89], -v[204:205]
	;; [unrolled: 1-line block ×7, first 2 shown]
	v_add_f64 v[186:187], v[182:183], v[40:41]
	v_add_f64 v[40:41], v[198:199], v[196:197]
	v_add_f64 v[146:147], v[211:212], -v[198:199]
	v_add_f64 v[139:140], v[198:199], -v[196:197]
	;; [unrolled: 1-line block ×3, first 2 shown]
	v_add_f64 v[42:43], v[24:25], v[50:51]
	v_add_f64 v[24:25], v[24:25], -v[50:51]
	v_add_f64 v[202:203], v[90:91], -v[131:132]
	v_add_f64 v[76:77], v[129:130], v[90:91]
	v_add_f64 v[88:89], v[129:130], -v[90:91]
	v_add_f64 v[90:91], v[135:136], v[78:79]
	v_add_f64 v[206:207], v[78:79], -v[137:138]
	v_add_f64 v[168:169], v[131:132], -v[129:130]
	;; [unrolled: 1-line block ×3, first 2 shown]
	v_mul_f64 v[160:161], v[160:161], s[24:25]
	v_mul_f64 v[172:173], v[133:134], s[24:25]
	;; [unrolled: 1-line block ×3, first 2 shown]
	v_add_f64 v[213:214], v[211:212], v[40:41]
	v_add_f64 v[150:151], v[36:37], v[186:187]
	;; [unrolled: 1-line block ×4, first 2 shown]
	v_add_f64 v[22:23], v[22:23], -v[28:29]
	v_add_f64 v[28:29], v[44:45], -v[48:49]
	v_mul_f64 v[129:130], v[202:203], s[20:21]
	v_add_f64 v[208:209], v[76:77], v[131:132]
	v_mul_f64 v[76:77], v[158:159], s[16:17]
	v_add_f64 v[242:243], v[90:91], v[137:138]
	v_add_f64 v[137:138], v[137:138], -v[135:136]
	v_mul_f64 v[131:132], v[206:207], s[20:21]
	v_mul_f64 v[244:245], v[88:89], s[22:23]
	v_fma_f64 v[135:136], v[200:201], s[26:27], -v[160:161]
	v_mul_f64 v[204:205], v[204:205], s[22:23]
	v_fma_f64 v[133:134], v[164:165], s[26:27], -v[172:173]
	v_fma_f64 v[78:79], v[200:201], s[18:19], -v[78:79]
	v_fma_f64 v[158:159], v[158:159], s[16:17], v[172:173]
	v_fma_f64 v[160:161], v[170:171], s[16:17], v[160:161]
	v_add_f64 v[170:171], v[62:63], -v[92:93]
	v_add_f64 v[172:173], v[60:61], v[94:95]
	v_add_f64 v[152:153], v[38:39], v[213:214]
	v_mul_f64 v[60:61], v[144:145], s[16:17]
	v_fma_f64 v[186:187], v[186:187], s[4:5], v[150:151]
	v_add_f64 v[223:224], v[221:222], v[36:37]
	v_add_f64 v[36:37], v[227:228], v[225:226]
	v_add_f64 v[38:39], v[46:47], v[30:31]
	v_fma_f64 v[129:130], v[168:169], s[30:31], -v[129:130]
	v_add_f64 v[30:31], v[46:47], -v[30:31]
	v_fma_f64 v[76:77], v[164:165], s[18:19], -v[76:77]
	v_fma_f64 v[131:132], v[137:138], s[30:31], -v[131:132]
	;; [unrolled: 1-line block ×3, first 2 shown]
	v_add_f64 v[135:136], v[135:136], v[174:175]
	v_fma_f64 v[137:138], v[137:138], s[28:29], v[204:205]
	v_add_f64 v[133:134], v[133:134], v[162:163]
	v_add_f64 v[248:249], v[78:79], v[174:175]
	v_mul_f64 v[94:95], v[170:171], s[20:21]
	v_fma_f64 v[198:199], v[213:214], s[4:5], v[152:153]
	v_add_f64 v[154:155], v[32:33], v[223:224]
	v_add_f64 v[240:241], v[229:230], v[36:37]
	;; [unrolled: 1-line block ×3, first 2 shown]
	v_fma_f64 v[164:165], v[208:209], s[14:15], v[129:130]
	v_add_f64 v[44:45], v[22:23], v[30:31]
	v_add_f64 v[46:47], v[22:23], -v[30:31]
	v_add_f64 v[246:247], v[76:77], v[162:163]
	v_add_f64 v[162:163], v[158:159], v[162:163]
	v_add_f64 v[22:23], v[28:29], -v[22:23]
	v_fma_f64 v[200:201], v[242:243], s[14:15], v[131:132]
	v_add_f64 v[30:31], v[30:31], -v[28:29]
	v_add_f64 v[48:49], v[4:5], -v[6:7]
	v_fma_f64 v[137:138], v[242:243], s[14:15], v[137:138]
	v_fma_f64 v[90:91], v[208:209], s[14:15], v[88:89]
	v_fma_f64 v[88:89], v[206:207], s[20:21], -v[204:205]
	v_add_f64 v[156:157], v[34:35], v[240:241]
	v_add_f64 v[32:33], v[38:39], v[36:37]
	v_add_f64 v[131:132], v[135:136], -v[164:165]
	v_add_f64 v[135:136], v[164:165], v[135:136]
	v_fma_f64 v[164:165], v[168:169], s[28:29], v[244:245]
	v_add_f64 v[168:169], v[160:161], v[174:175]
	v_add_f64 v[174:175], v[70:71], v[92:93]
	v_add_f64 v[20:21], v[38:39], -v[36:37]
	v_add_f64 v[26:27], v[36:37], -v[40:41]
	;; [unrolled: 1-line block ×3, first 2 shown]
	v_add_f64 v[28:29], v[44:45], v[28:29]
	v_add_f64 v[158:159], v[137:138], v[162:163]
	v_add_f64 v[162:163], v[162:163], -v[137:138]
	v_add_f64 v[137:138], v[178:179], -v[176:177]
	v_mul_f64 v[178:179], v[68:69], s[22:23]
	v_add_f64 v[176:177], v[176:177], -v[182:183]
	v_add_f64 v[181:182], v[196:197], -v[211:212]
	v_add_f64 v[44:45], v[4:5], v[6:7]
	v_add_f64 v[4:5], v[24:25], -v[4:5]
	v_add_f64 v[6:7], v[6:7], -v[24:25]
	v_add_f64 v[34:35], v[52:53], v[42:43]
	v_add_f64 v[129:130], v[200:201], v[133:134]
	v_add_f64 v[133:134], v[133:134], -v[200:201]
	v_add_f64 v[32:33], v[40:41], v[32:33]
	v_add_f64 v[38:39], v[52:53], -v[42:43]
	v_add_f64 v[40:41], v[42:43], -v[54:55]
	v_fma_f64 v[164:165], v[208:209], s[14:15], v[164:165]
	v_add_f64 v[42:43], v[54:55], -v[52:53]
	v_fma_f64 v[88:89], v[242:243], s[14:15], v[88:89]
	v_add_f64 v[78:79], v[90:91], v[248:249]
	v_mul_f64 v[26:27], v[26:27], s[24:25]
	v_add_f64 v[90:91], v[248:249], -v[90:91]
	v_fma_f64 v[60:61], v[137:138], s[18:19], -v[60:61]
	v_fma_f64 v[68:69], v[148:149], s[20:21], -v[178:179]
	v_add_f64 v[24:25], v[44:45], v[24:25]
	v_mul_f64 v[44:45], v[36:37], s[16:17]
	v_add_f64 v[34:35], v[54:55], v[34:35]
	v_add_f64 v[16:17], v[16:17], v[32:33]
	v_add_f64 v[160:161], v[168:169], -v[164:165]
	v_add_f64 v[164:165], v[164:165], v[168:169]
	v_add_f64 v[168:169], v[82:83], -v[62:63]
	v_add_f64 v[82:83], v[92:93], -v[82:83]
	v_mul_f64 v[92:93], v[148:149], s[20:21]
	v_mul_f64 v[148:149], v[176:177], s[24:25]
	;; [unrolled: 1-line block ×3, first 2 shown]
	v_fma_f64 v[50:51], v[36:37], s[16:17], v[26:27]
	v_fma_f64 v[52:53], v[20:21], s[26:27], -v[26:27]
	v_add_f64 v[200:201], v[60:61], v[186:187]
	v_fma_f64 v[70:71], v[172:173], s[14:15], v[68:69]
	v_mul_f64 v[26:27], v[30:31], s[20:21]
	v_mul_f64 v[36:37], v[6:7], s[20:21]
	v_add_f64 v[76:77], v[246:247], -v[88:89]
	v_fma_f64 v[44:45], v[20:21], s[18:19], -v[44:45]
	v_mul_f64 v[20:21], v[46:47], s[22:23]
	v_add_f64 v[18:19], v[18:19], v[34:35]
	v_add_f64 v[88:89], v[88:89], v[246:247]
	ds_write_b128 v188, v[158:161] offset:640
	ds_write_b128 v188, v[129:132] offset:1280
	;; [unrolled: 1-line block ×5, first 2 shown]
	v_mul_f64 v[168:169], v[168:169], s[22:23]
	v_fma_f64 v[94:95], v[82:83], s[30:31], -v[94:95]
	v_fma_f64 v[144:145], v[144:145], s[16:17], v[148:149]
	v_fma_f64 v[92:93], v[86:87], s[30:31], -v[92:93]
	v_fma_f64 v[137:138], v[137:138], s[26:27], -v[148:149]
	v_fma_f64 v[86:87], v[86:87], s[28:29], v[178:179]
	v_fma_f64 v[62:63], v[139:140], s[18:19], -v[62:63]
	;; [unrolled: 3-line block ×3, first 2 shown]
	v_mul_f64 v[26:27], v[48:49], s[22:23]
	v_fma_f64 v[48:49], v[4:5], s[30:31], -v[36:37]
	v_mov_b32_e32 v76, 0x118
	buffer_store_dword v188, off, s[36:39], 0 offset:636 ; 4-byte Folded Spill
	ds_write_b128 v188, v[162:165] offset:3840
	v_mul_u32_u24_sdwa v77, v166, v76 dst_sel:DWORD dst_unused:UNUSED_PAD src0_sel:WORD_0 src1_sel:DWORD
	v_fma_f64 v[68:69], v[170:171], s[20:21], -v[168:169]
	v_mul_f64 v[170:171], v[181:182], s[24:25]
	v_fma_f64 v[82:83], v[82:83], s[28:29], v[168:169]
	v_add_f64 v[148:149], v[144:145], v[186:187]
	v_fma_f64 v[176:177], v[172:173], s[14:15], v[92:93]
	v_fma_f64 v[86:87], v[172:173], s[14:15], v[86:87]
	v_add_f64 v[202:203], v[62:63], v[198:199]
	v_fma_f64 v[181:182], v[174:175], s[14:15], v[94:95]
	v_add_f64 v[137:138], v[137:138], v[186:187]
	v_add_f64 v[186:187], v[80:81], -v[72:73]
	v_fma_f64 v[46:47], v[6:7], s[20:21], -v[26:27]
	v_fma_f64 v[26:27], v[4:5], s[28:29], v[26:27]
	v_mul_f64 v[4:5], v[40:41], s[24:25]
	v_mul_f64 v[6:7], v[42:43], s[16:17]
	v_fma_f64 v[36:37], v[28:29], s[14:15], v[30:31]
	v_fma_f64 v[30:31], v[28:29], s[14:15], v[22:23]
	;; [unrolled: 1-line block ×3, first 2 shown]
	v_add_lshl_u32 v189, v77, v167, 4
	v_fma_f64 v[68:69], v[174:175], s[14:15], v[68:69]
	v_fma_f64 v[146:147], v[146:147], s[16:17], v[170:171]
	;; [unrolled: 1-line block ×3, first 2 shown]
	v_fma_f64 v[139:140], v[139:140], s[26:27], -v[170:171]
	v_fma_f64 v[174:175], v[223:224], s[4:5], v[154:155]
	v_add_f64 v[62:63], v[70:71], v[202:203]
	v_add_f64 v[70:71], v[202:203], -v[70:71]
	v_add_f64 v[92:93], v[181:182], v[137:138]
	v_add_f64 v[137:138], v[137:138], -v[181:182]
	v_fma_f64 v[40:41], v[42:43], s[16:17], v[4:5]
	v_fma_f64 v[42:43], v[38:39], s[18:19], -v[6:7]
	v_fma_f64 v[54:55], v[38:39], s[26:27], -v[4:5]
	v_fma_f64 v[6:7], v[28:29], s[14:15], v[20:21]
	v_fma_f64 v[28:29], v[32:33], s[4:5], v[16:17]
	;; [unrolled: 1-line block ×5, first 2 shown]
	v_add_f64 v[60:61], v[200:201], -v[68:69]
	v_add_f64 v[168:169], v[146:147], v[198:199]
	v_add_f64 v[144:145], v[82:83], v[148:149]
	v_add_f64 v[196:197], v[148:149], -v[82:83]
	v_add_f64 v[82:83], v[58:59], -v[126:127]
	;; [unrolled: 1-line block ×4, first 2 shown]
	v_add_f64 v[139:140], v[139:140], v[198:199]
	v_add_f64 v[120:121], v[227:228], -v[225:226]
	v_add_f64 v[68:69], v[68:69], v[200:201]
	v_add_f64 v[26:27], v[50:51], v[28:29]
	;; [unrolled: 1-line block ×7, first 2 shown]
	v_add_f64 v[146:147], v[168:169], -v[86:87]
	v_add_f64 v[198:199], v[86:87], v[168:169]
	v_add_f64 v[86:87], v[221:222], -v[219:220]
	v_add_f64 v[124:125], v[66:67], -v[82:83]
	;; [unrolled: 1-line block ×3, first 2 shown]
	v_mul_f64 v[172:173], v[64:65], s[22:23]
	v_add_f64 v[66:67], v[72:73], v[58:59]
	v_add_f64 v[148:149], v[58:59], -v[80:81]
	v_add_f64 v[168:169], v[56:57], v[82:83]
	v_mul_f64 v[58:59], v[122:123], s[16:17]
	v_add_f64 v[94:95], v[139:140], -v[176:177]
	v_add_f64 v[139:140], v[176:177], v[139:140]
	v_fma_f64 v[176:177], v[240:241], s[4:5], v[156:157]
	v_add_f64 v[183:184], v[82:83], -v[74:75]
	ds_write_b128 v189, v[150:153]
	ds_write_b128 v189, v[144:147] offset:640
	ds_write_b128 v189, v[92:95] offset:1280
	ds_write_b128 v189, v[60:63] offset:1920
	ds_write_b128 v189, v[68:71] offset:2560
	ds_write_b128 v189, v[137:140] offset:3200
	ds_write_b128 v189, v[196:199] offset:3840
	v_mul_f64 v[126:127], v[126:127], s[22:23]
	v_mul_f64 v[56:57], v[86:87], s[16:17]
	v_fma_f64 v[64:65], v[124:125], s[20:21], -v[172:173]
	v_add_f64 v[170:171], v[66:67], v[80:81]
	v_fma_f64 v[58:59], v[120:121], s[18:19], -v[58:59]
	v_mul_f64 v[72:73], v[124:125], s[20:21]
	v_mul_f64 v[74:75], v[148:149], s[20:21]
	v_add_f64 v[40:41], v[28:29], -v[22:23]
	v_add_f64 v[42:43], v[30:31], v[34:35]
	v_mul_u32_u24_sdwa v60, v142, v76 dst_sel:DWORD dst_unused:UNUSED_PAD src0_sel:WORD_0 src1_sel:DWORD
	v_add_f64 v[48:49], v[4:5], v[24:25]
	v_add_f64 v[50:51], v[38:39], -v[36:37]
	v_add_lshl_u32 v60, v60, v143, 4
	v_fma_f64 v[56:57], v[84:85], s[18:19], -v[56:57]
	v_fma_f64 v[66:67], v[168:169], s[14:15], v[64:65]
	v_fma_f64 v[64:65], v[148:149], s[20:21], -v[126:127]
	v_add_f64 v[181:182], v[58:59], v[176:177]
	v_fma_f64 v[72:73], v[183:184], s[30:31], -v[72:73]
	v_fma_f64 v[74:75], v[186:187], s[30:31], -v[74:75]
	v_add_f64 v[178:179], v[56:57], v[174:175]
	v_fma_f64 v[64:65], v[170:171], s[14:15], v[64:65]
	v_add_f64 v[58:59], v[66:67], v[181:182]
	v_add_f64 v[66:67], v[181:182], -v[66:67]
	v_add_f64 v[181:182], v[225:226], -v[229:230]
	;; [unrolled: 1-line block ×3, first 2 shown]
	v_add_f64 v[64:65], v[64:65], v[178:179]
	v_add_f64 v[178:179], v[217:218], -v[221:222]
	v_mul_f64 v[148:149], v[181:182], s[24:25]
	v_mul_f64 v[124:125], v[178:179], s[24:25]
	v_fma_f64 v[82:83], v[120:121], s[26:27], -v[148:149]
	v_fma_f64 v[120:121], v[170:171], s[14:15], v[74:75]
	v_fma_f64 v[122:123], v[122:123], s[16:17], v[148:149]
	v_fma_f64 v[80:81], v[84:85], s[26:27], -v[124:125]
	v_fma_f64 v[84:85], v[168:169], s[14:15], v[72:73]
	v_add_f64 v[82:83], v[82:83], v[176:177]
	v_fma_f64 v[86:87], v[86:87], s[16:17], v[124:125]
	v_add_f64 v[122:123], v[122:123], v[176:177]
	v_add_f64 v[80:81], v[80:81], v[174:175]
	v_add_f64 v[74:75], v[82:83], -v[84:85]
	v_add_f64 v[82:83], v[84:85], v[82:83]
	v_fma_f64 v[84:85], v[183:184], s[28:29], v[172:173]
	v_add_f64 v[72:73], v[120:121], v[80:81]
	v_add_f64 v[80:81], v[80:81], -v[120:121]
	v_fma_f64 v[120:121], v[186:187], s[28:29], v[126:127]
	v_add_f64 v[126:127], v[86:87], v[174:175]
	v_fma_f64 v[124:125], v[168:169], s[14:15], v[84:85]
	v_fma_f64 v[120:121], v[170:171], s[14:15], v[120:121]
	v_add_f64 v[86:87], v[122:123], -v[124:125]
	v_add_f64 v[122:123], v[124:125], v[122:123]
	v_add_f64 v[84:85], v[120:121], v[126:127]
	v_add_f64 v[120:121], v[126:127], -v[120:121]
	ds_write_b128 v60, v[154:157]
	ds_write_b128 v60, v[84:87] offset:640
	ds_write_b128 v60, v[72:75] offset:1280
	;; [unrolled: 1-line block ×5, first 2 shown]
	buffer_store_dword v60, off, s[36:39], 0 offset:816 ; 4-byte Folded Spill
	ds_write_b128 v60, v[120:123] offset:3840
	buffer_store_dword v40, off, s[36:39], 0 offset:8 ; 4-byte Folded Spill
	buffer_store_dword v41, off, s[36:39], 0 offset:12 ; 4-byte Folded Spill
	;; [unrolled: 1-line block ×4, first 2 shown]
	v_add_f64 v[40:41], v[26:27], -v[20:21]
	v_add_f64 v[42:43], v[6:7], v[32:33]
	buffer_store_dword v40, off, s[36:39], 0 offset:24 ; 4-byte Folded Spill
	buffer_store_dword v41, off, s[36:39], 0 offset:28 ; 4-byte Folded Spill
	;; [unrolled: 1-line block ×4, first 2 shown]
	s_and_saveexec_b32 s1, s0
	s_cbranch_execz .LBB0_19
; %bb.18:
	v_add_f64 v[30:31], v[34:35], -v[30:31]
	v_add_f64 v[34:35], v[24:25], -v[4:5]
	v_lshlrev_b32_e32 v4, 4, v128
	v_add_f64 v[36:37], v[36:37], v[38:39]
	v_add_f64 v[40:41], v[32:33], -v[6:7]
	ds_write_b128 v4, v[16:19] offset:17920
	ds_write_b128 v4, v[48:51] offset:20480
	s_clause 0x3
	buffer_load_dword v16, off, s[36:39], 0 offset:8
	buffer_load_dword v17, off, s[36:39], 0 offset:12
	;; [unrolled: 1-line block ×4, first 2 shown]
	v_add_f64 v[38:39], v[20:21], v[26:27]
	v_add_f64 v[28:29], v[22:23], v[28:29]
	s_waitcnt vmcnt(0)
	ds_write_b128 v4, v[16:19] offset:21120
	ds_write_b128 v4, v[38:41] offset:18560
	;; [unrolled: 1-line block ×4, first 2 shown]
	s_clause 0x3
	buffer_load_dword v16, off, s[36:39], 0 offset:24
	buffer_load_dword v17, off, s[36:39], 0 offset:28
	;; [unrolled: 1-line block ×4, first 2 shown]
	s_waitcnt vmcnt(0)
	ds_write_b128 v4, v[16:19] offset:21760
.LBB0_19:
	s_or_b32 exec_lo, exec_lo, s1
	v_lshlrev_b32_e32 v4, 6, v185
	v_lshlrev_b32_e32 v16, 6, v210
	s_waitcnt lgkmcnt(0)
	s_waitcnt_vscnt null, 0x0
	s_barrier
	buffer_gl0_inv
	v_add_co_u32 v6, s1, s2, v4
	v_add_co_ci_u32_e64 v7, null, s3, 0, s1
	buffer_store_dword v185, off, s[36:39], 0 ; 4-byte Folded Spill
	v_add_co_u32 v4, s1, 0x1000, v6
	v_add_co_ci_u32_e64 v5, s1, 0, v7, s1
	s_mov_b32 s18, 0x134454ff
	s_mov_b32 s19, 0x3fee6f0e
	;; [unrolled: 1-line block ×3, first 2 shown]
	global_load_dwordx4 v[208:211], v[4:5], off offset:352
	v_add_co_u32 v4, s1, 0x1160, v6
	v_add_co_ci_u32_e64 v5, s1, 0, v7, s1
	v_add_co_u32 v16, s1, s2, v16
	v_add_co_ci_u32_e64 v17, null, s3, 0, s1
	global_load_dwordx4 v[204:207], v[4:5], off offset:16
	v_add_co_u32 v6, s1, 0x1000, v16
	v_add_co_ci_u32_e64 v7, s1, 0, v17, s1
	s_clause 0x2
	global_load_dwordx4 v[212:215], v[4:5], off offset:32
	global_load_dwordx4 v[200:203], v[4:5], off offset:48
	;; [unrolled: 1-line block ×3, first 2 shown]
	v_add_co_u32 v4, s1, 0x1160, v16
	v_add_co_ci_u32_e64 v5, s1, 0, v17, s1
	v_lshlrev_b32_e32 v6, 6, v216
	s_clause 0x2
	global_load_dwordx4 v[244:247], v[4:5], off offset:16
	global_load_dwordx4 v[240:243], v[4:5], off offset:32
	;; [unrolled: 1-line block ×3, first 2 shown]
	v_add_co_u32 v6, s1, s2, v6
	v_add_co_ci_u32_e64 v7, null, s3, 0, s1
	s_mov_b32 s16, s18
	v_add_co_u32 v4, s1, 0x1000, v6
	v_add_co_ci_u32_e64 v5, s1, 0, v7, s1
	s_mov_b32 s4, 0x4755a5e
	s_mov_b32 s5, 0x3fe2cf23
	;; [unrolled: 1-line block ×3, first 2 shown]
	global_load_dwordx4 v[228:231], v[4:5], off offset:352
	v_add_co_u32 v4, s1, 0x1160, v6
	v_add_co_ci_u32_e64 v5, s1, 0, v7, s1
	s_clause 0x2
	global_load_dwordx4 v[224:227], v[4:5], off offset:16
	global_load_dwordx4 v[220:223], v[4:5], off offset:32
	;; [unrolled: 1-line block ×3, first 2 shown]
	ds_read_b128 v[36:39], v180 offset:4480
	ds_read_b128 v[32:35], v180 offset:8960
	;; [unrolled: 1-line block ×12, first 2 shown]
	s_mov_b32 s14, s4
	s_waitcnt vmcnt(11) lgkmcnt(11)
	v_mul_f64 v[60:61], v[38:39], v[210:211]
	v_mul_f64 v[62:63], v[36:37], v[210:211]
	s_waitcnt vmcnt(10) lgkmcnt(10)
	v_mul_f64 v[64:65], v[34:35], v[206:207]
	v_mul_f64 v[66:67], v[32:33], v[206:207]
	;; [unrolled: 3-line block ×5, first 2 shown]
	s_waitcnt vmcnt(6) lgkmcnt(6)
	v_mul_f64 v[84:85], v[18:19], v[246:247]
	v_fma_f64 v[86:87], v[36:37], v[208:209], -v[60:61]
	v_mul_f64 v[36:37], v[16:17], v[246:247]
	v_fma_f64 v[88:89], v[38:39], v[208:209], v[62:63]
	s_waitcnt vmcnt(5) lgkmcnt(4)
	v_mul_f64 v[38:39], v[6:7], v[242:243]
	v_fma_f64 v[64:65], v[32:33], v[204:205], -v[64:65]
	v_mul_f64 v[32:33], v[4:5], v[242:243]
	v_fma_f64 v[66:67], v[34:35], v[204:205], v[66:67]
	s_waitcnt vmcnt(4) lgkmcnt(3)
	v_mul_f64 v[34:35], v[42:43], v[250:251]
	v_fma_f64 v[68:69], v[28:29], v[212:213], -v[68:69]
	v_fma_f64 v[70:71], v[30:31], v[212:213], v[70:71]
	ds_read_b128 v[28:31], v180 offset:10752
	v_fma_f64 v[90:91], v[26:27], v[200:201], v[74:75]
	s_waitcnt vmcnt(3) lgkmcnt(2)
	v_mul_f64 v[26:27], v[46:47], v[230:231]
	v_mul_f64 v[60:61], v[44:45], v[230:231]
	v_fma_f64 v[72:73], v[24:25], v[200:201], -v[72:73]
	v_mul_f64 v[24:25], v[40:41], v[250:251]
	v_fma_f64 v[92:93], v[20:21], v[196:197], -v[76:77]
	v_fma_f64 v[84:85], v[16:17], v[244:245], -v[84:85]
	v_fma_f64 v[94:95], v[22:23], v[196:197], v[78:79]
	ds_read_b128 v[20:23], v180 offset:11648
	v_fma_f64 v[120:121], v[18:19], v[244:245], v[36:37]
	v_fma_f64 v[122:123], v[4:5], v[240:241], -v[38:39]
	v_fma_f64 v[124:125], v[6:7], v[240:241], v[32:33]
	ds_read_b128 v[4:7], v180 offset:19712
	s_waitcnt vmcnt(1) lgkmcnt(3)
	v_mul_f64 v[32:33], v[58:59], v[222:223]
	s_waitcnt lgkmcnt(2)
	v_mul_f64 v[16:17], v[30:31], v[226:227]
	v_mul_f64 v[18:19], v[28:29], v[226:227]
	v_fma_f64 v[126:127], v[40:41], v[248:249], -v[34:35]
	v_mul_f64 v[34:35], v[56:57], v[222:223]
	v_fma_f64 v[132:133], v[44:45], v[228:229], -v[26:27]
	v_fma_f64 v[134:135], v[46:47], v[228:229], v[60:61]
	v_add_f64 v[78:79], v[88:89], -v[90:91]
	v_fma_f64 v[128:129], v[42:43], v[248:249], v[24:25]
	ds_read_b128 v[24:27], v180 offset:20608
	v_add_f64 v[130:131], v[66:67], -v[70:71]
	v_add_f64 v[148:149], v[86:87], -v[72:73]
	;; [unrolled: 1-line block ×3, first 2 shown]
	v_fma_f64 v[140:141], v[56:57], v[220:221], -v[32:33]
	v_fma_f64 v[136:137], v[28:29], v[224:225], -v[16:17]
	v_lshlrev_b32_e32 v28, 6, v254
	v_fma_f64 v[138:139], v[30:31], v[224:225], v[18:19]
	s_waitcnt vmcnt(0) lgkmcnt(1)
	v_mul_f64 v[16:17], v[6:7], v[218:219]
	v_mul_f64 v[18:19], v[4:5], v[218:219]
	v_fma_f64 v[142:143], v[58:59], v[220:221], v[34:35]
	v_add_co_u32 v30, s1, s2, v28
	v_add_co_ci_u32_e64 v31, null, s3, 0, s1
	v_add_co_u32 v28, s1, 0x1000, v30
	v_add_co_ci_u32_e64 v29, s1, 0, v31, s1
	global_load_dwordx4 v[44:47], v[28:29], off offset:352
	v_add_co_u32 v28, s1, 0x1160, v30
	v_add_co_ci_u32_e64 v29, s1, 0, v31, s1
	v_add_f64 v[187:188], v[136:137], -v[140:141]
	v_add_f64 v[190:191], v[136:137], -v[132:133]
	v_fma_f64 v[144:145], v[4:5], v[216:217], -v[16:17]
	v_fma_f64 v[146:147], v[6:7], v[216:217], v[18:19]
	ds_read_b128 v[4:7], v180 offset:7168
	ds_read_b128 v[32:35], v180 offset:8064
	s_clause 0x2
	global_load_dwordx4 v[16:19], v[28:29], off offset:48
	global_load_dwordx4 v[40:43], v[28:29], off offset:16
	;; [unrolled: 1-line block ×3, first 2 shown]
	v_add_f64 v[254:255], v[138:139], -v[142:143]
	v_add_f64 v[185:186], v[132:133], -v[144:145]
	s_waitcnt vmcnt(3) lgkmcnt(1)
	v_mul_f64 v[30:31], v[6:7], v[46:47]
	v_fma_f64 v[152:153], v[4:5], v[44:45], -v[30:31]
	v_mul_f64 v[4:5], v[4:5], v[46:47]
	v_fma_f64 v[154:155], v[6:7], v[44:45], v[4:5]
	s_waitcnt vmcnt(1)
	v_mul_f64 v[4:5], v[22:23], v[42:43]
	v_fma_f64 v[156:157], v[20:21], v[40:41], -v[4:5]
	v_mul_f64 v[4:5], v[20:21], v[42:43]
	v_fma_f64 v[158:159], v[22:23], v[40:41], v[4:5]
	ds_read_b128 v[4:7], v180 offset:16128
	ds_read_b128 v[56:59], v180 offset:17024
	s_waitcnt vmcnt(0) lgkmcnt(1)
	v_mul_f64 v[20:21], v[6:7], v[38:39]
	v_fma_f64 v[160:161], v[4:5], v[36:37], -v[20:21]
	v_mul_f64 v[4:5], v[4:5], v[38:39]
	v_fma_f64 v[162:163], v[6:7], v[36:37], v[4:5]
	v_mul_f64 v[4:5], v[26:27], v[18:19]
	v_fma_f64 v[164:165], v[24:25], v[16:17], -v[4:5]
	v_mul_f64 v[4:5], v[24:25], v[18:19]
	v_fma_f64 v[166:167], v[26:27], v[16:17], v[4:5]
	v_lshlrev_b32_e32 v4, 6, v253
	v_add_co_u32 v6, s1, s2, v4
	v_add_co_ci_u32_e64 v7, null, s3, 0, s1
	s_mov_b32 s2, 0x372fe950
	v_add_co_u32 v4, s1, 0x1000, v6
	v_add_co_ci_u32_e64 v5, s1, 0, v7, s1
	v_add_co_u32 v6, s1, 0x1160, v6
	v_add_co_ci_u32_e64 v7, s1, 0, v7, s1
	s_clause 0x1
	global_load_dwordx4 v[28:31], v[4:5], off offset:352
	global_load_dwordx4 v[20:23], v[6:7], off offset:48
	s_mov_b32 s3, 0x3fd3c6ef
	s_waitcnt vmcnt(1)
	v_mul_f64 v[4:5], v[34:35], v[30:31]
	v_fma_f64 v[168:169], v[32:33], v[28:29], -v[4:5]
	v_mul_f64 v[4:5], v[32:33], v[30:31]
	v_fma_f64 v[170:171], v[34:35], v[28:29], v[4:5]
	s_clause 0x1
	global_load_dwordx4 v[32:35], v[6:7], off offset:16
	global_load_dwordx4 v[24:27], v[6:7], off offset:32
	s_waitcnt vmcnt(1)
	v_mul_f64 v[4:5], v[54:55], v[34:35]
	v_fma_f64 v[172:173], v[52:53], v[32:33], -v[4:5]
	v_mul_f64 v[4:5], v[52:53], v[34:35]
	v_fma_f64 v[174:175], v[54:55], v[32:33], v[4:5]
	s_waitcnt vmcnt(0) lgkmcnt(0)
	v_mul_f64 v[4:5], v[58:59], v[26:27]
	v_fma_f64 v[176:177], v[56:57], v[24:25], -v[4:5]
	v_mul_f64 v[4:5], v[56:57], v[26:27]
	v_add_f64 v[56:57], v[64:65], v[68:69]
	v_fma_f64 v[178:179], v[58:59], v[24:25], v[4:5]
	ds_read_b128 v[4:7], v180 offset:21504
	s_waitcnt lgkmcnt(0)
	v_mul_f64 v[52:53], v[6:7], v[22:23]
	v_fma_f64 v[181:182], v[4:5], v[20:21], -v[52:53]
	v_mul_f64 v[4:5], v[4:5], v[22:23]
	v_fma_f64 v[183:184], v[6:7], v[20:21], v[4:5]
	v_add_f64 v[4:5], v[86:87], -v[64:65]
	v_add_f64 v[6:7], v[72:73], -v[68:69]
	v_add_f64 v[60:61], v[4:5], v[6:7]
	v_add_f64 v[4:5], v[88:89], -v[66:67]
	v_add_f64 v[6:7], v[90:91], -v[70:71]
	v_add_f64 v[62:63], v[4:5], v[6:7]
	ds_read_b128 v[4:7], v180
	ds_read_b128 v[52:55], v180 offset:896
	s_waitcnt lgkmcnt(1)
	v_fma_f64 v[74:75], v[56:57], -0.5, v[4:5]
	v_add_f64 v[56:57], v[66:67], v[70:71]
	v_fma_f64 v[76:77], v[56:57], -0.5, v[6:7]
	v_fma_f64 v[56:57], v[78:79], s[18:19], v[74:75]
	v_fma_f64 v[74:75], v[78:79], s[16:17], v[74:75]
	;; [unrolled: 1-line block ×10, first 2 shown]
	v_add_f64 v[74:75], v[86:87], v[72:73]
	v_fma_f64 v[58:59], v[62:63], s[2:3], v[58:59]
	v_fma_f64 v[62:63], v[62:63], s[2:3], v[76:77]
	v_fma_f64 v[76:77], v[74:75], -0.5, v[4:5]
	v_add_f64 v[74:75], v[88:89], v[90:91]
	v_add_f64 v[4:5], v[4:5], v[86:87]
	v_add_f64 v[86:87], v[64:65], -v[86:87]
	v_fma_f64 v[252:253], v[74:75], -0.5, v[6:7]
	v_add_f64 v[6:7], v[6:7], v[88:89]
	v_add_f64 v[4:5], v[4:5], v[64:65]
	v_add_f64 v[64:65], v[66:67], -v[88:89]
	v_add_f64 v[6:7], v[6:7], v[66:67]
	v_add_f64 v[4:5], v[4:5], v[68:69]
	v_add_f64 v[66:67], v[68:69], -v[72:73]
	v_fma_f64 v[68:69], v[130:131], s[18:19], v[76:77]
	v_add_f64 v[6:7], v[6:7], v[70:71]
	v_add_f64 v[72:73], v[4:5], v[72:73]
	v_add_f64 v[4:5], v[70:71], -v[90:91]
	v_fma_f64 v[70:71], v[150:151], s[18:19], v[252:253]
	v_add_f64 v[66:67], v[86:87], v[66:67]
	v_add_f64 v[74:75], v[6:7], v[90:91]
	v_fma_f64 v[6:7], v[130:131], s[16:17], v[76:77]
	v_fma_f64 v[76:77], v[150:151], s[16:17], v[252:253]
	v_add_f64 v[86:87], v[64:65], v[4:5]
	v_fma_f64 v[64:65], v[78:79], s[14:15], v[68:69]
	v_add_f64 v[90:91], v[94:95], -v[128:129]
	v_add_f64 v[130:131], v[120:121], -v[124:125]
	;; [unrolled: 1-line block ×3, first 2 shown]
	v_fma_f64 v[4:5], v[78:79], s[4:5], v[6:7]
	v_fma_f64 v[68:69], v[148:149], s[4:5], v[76:77]
	;; [unrolled: 1-line block ×4, first 2 shown]
	v_add_f64 v[70:71], v[126:127], -v[122:123]
	v_add_f64 v[76:77], v[128:129], -v[124:125]
	;; [unrolled: 1-line block ×3, first 2 shown]
	v_fma_f64 v[4:5], v[66:67], s[2:3], v[4:5]
	v_fma_f64 v[66:67], v[86:87], s[2:3], v[68:69]
	v_add_f64 v[68:69], v[92:93], -v[84:85]
	v_fma_f64 v[6:7], v[86:87], s[2:3], v[6:7]
	v_add_f64 v[68:69], v[68:69], v[70:71]
	v_add_f64 v[70:71], v[94:95], -v[120:121]
	v_add_f64 v[70:71], v[70:71], v[76:77]
	v_add_f64 v[76:77], v[84:85], v[122:123]
	s_waitcnt lgkmcnt(0)
	v_fma_f64 v[86:87], v[76:77], -0.5, v[52:53]
	v_add_f64 v[76:77], v[120:121], v[124:125]
	v_fma_f64 v[88:89], v[76:77], -0.5, v[54:55]
	v_fma_f64 v[76:77], v[90:91], s[18:19], v[86:87]
	v_fma_f64 v[86:87], v[90:91], s[16:17], v[86:87]
	;; [unrolled: 1-line block ×10, first 2 shown]
	v_add_f64 v[86:87], v[92:93], v[126:127]
	v_fma_f64 v[78:79], v[70:71], s[2:3], v[78:79]
	v_fma_f64 v[70:71], v[70:71], s[2:3], v[88:89]
	v_fma_f64 v[88:89], v[86:87], -0.5, v[52:53]
	v_add_f64 v[86:87], v[94:95], v[128:129]
	v_add_f64 v[52:53], v[52:53], v[92:93]
	v_add_f64 v[92:93], v[84:85], -v[92:93]
	v_fma_f64 v[252:253], v[86:87], -0.5, v[54:55]
	v_add_f64 v[54:55], v[54:55], v[94:95]
	v_add_f64 v[52:53], v[52:53], v[84:85]
	v_add_f64 v[94:95], v[120:121], -v[94:95]
	v_add_f64 v[54:55], v[54:55], v[120:121]
	v_add_f64 v[52:53], v[52:53], v[122:123]
	v_add_f64 v[120:121], v[122:123], -v[126:127]
	v_fma_f64 v[122:123], v[150:151], s[18:19], v[252:253]
	v_add_f64 v[54:55], v[54:55], v[124:125]
	v_add_f64 v[84:85], v[52:53], v[126:127]
	v_add_f64 v[52:53], v[124:125], -v[128:129]
	v_fma_f64 v[124:125], v[150:151], s[16:17], v[252:253]
	v_add_f64 v[92:93], v[92:93], v[120:121]
	v_add_f64 v[252:253], v[134:135], -v[146:147]
	v_add_f64 v[86:87], v[54:55], v[128:129]
	v_fma_f64 v[54:55], v[130:131], s[16:17], v[88:89]
	v_fma_f64 v[88:89], v[130:131], s[18:19], v[88:89]
	v_add_f64 v[52:53], v[94:95], v[52:53]
	v_fma_f64 v[120:121], v[148:149], s[4:5], v[124:125]
	v_add_f64 v[124:125], v[136:137], v[140:141]
	v_fma_f64 v[54:55], v[90:91], s[4:5], v[54:55]
	v_fma_f64 v[94:95], v[90:91], s[14:15], v[88:89]
	;; [unrolled: 1-line block ×7, first 2 shown]
	v_add_f64 v[52:53], v[132:133], -v[136:137]
	v_add_f64 v[54:55], v[144:145], -v[140:141]
	v_add_f64 v[128:129], v[52:53], v[54:55]
	v_add_f64 v[52:53], v[134:135], -v[138:139]
	v_add_f64 v[54:55], v[146:147], -v[142:143]
	v_add_f64 v[130:131], v[52:53], v[54:55]
	ds_read_b128 v[52:55], v180 offset:1792
	ds_read_b128 v[120:123], v180 offset:2688
	s_waitcnt lgkmcnt(1)
	v_fma_f64 v[148:149], v[124:125], -0.5, v[52:53]
	v_add_f64 v[124:125], v[138:139], v[142:143]
	v_fma_f64 v[150:151], v[124:125], -0.5, v[54:55]
	v_fma_f64 v[124:125], v[252:253], s[18:19], v[148:149]
	v_fma_f64 v[148:149], v[252:253], s[16:17], v[148:149]
	;; [unrolled: 1-line block ×10, first 2 shown]
	v_add_f64 v[148:149], v[132:133], v[144:145]
	v_fma_f64 v[126:127], v[130:131], s[2:3], v[126:127]
	v_fma_f64 v[130:131], v[130:131], s[2:3], v[150:151]
	v_add_f64 v[150:151], v[134:135], v[146:147]
	v_fma_f64 v[148:149], v[148:149], -0.5, v[52:53]
	v_add_f64 v[52:53], v[52:53], v[132:133]
	v_fma_f64 v[150:151], v[150:151], -0.5, v[54:55]
	v_add_f64 v[54:55], v[54:55], v[134:135]
	v_add_f64 v[52:53], v[52:53], v[136:137]
	v_add_f64 v[136:137], v[138:139], -v[134:135]
	v_add_f64 v[54:55], v[54:55], v[138:139]
	v_add_f64 v[138:139], v[140:141], -v[144:145]
	v_add_f64 v[52:53], v[52:53], v[140:141]
	v_fma_f64 v[140:141], v[254:255], s[18:19], v[148:149]
	v_add_f64 v[54:55], v[54:55], v[142:143]
	v_add_f64 v[132:133], v[52:53], v[144:145]
	v_add_f64 v[52:53], v[142:143], -v[146:147]
	v_fma_f64 v[142:143], v[187:188], s[18:19], v[150:151]
	v_fma_f64 v[144:145], v[187:188], s[16:17], v[150:151]
	;; [unrolled: 1-line block ×3, first 2 shown]
	v_add_f64 v[187:188], v[158:159], -v[162:163]
	v_add_f64 v[134:135], v[54:55], v[146:147]
	v_fma_f64 v[54:55], v[254:255], s[16:17], v[148:149]
	v_add_f64 v[146:147], v[190:191], v[138:139]
	v_add_f64 v[52:53], v[136:137], v[52:53]
	v_fma_f64 v[138:139], v[185:186], s[14:15], v[142:143]
	v_fma_f64 v[142:143], v[185:186], s[4:5], v[144:145]
	v_add_f64 v[144:145], v[166:167], -v[162:163]
	v_add_f64 v[185:186], v[154:155], -v[166:167]
	;; [unrolled: 1-line block ×3, first 2 shown]
	v_fma_f64 v[54:55], v[252:253], s[4:5], v[54:55]
	v_fma_f64 v[140:141], v[146:147], s[2:3], v[140:141]
	v_add_f64 v[252:253], v[156:157], -v[160:161]
	v_fma_f64 v[138:139], v[52:53], s[2:3], v[138:139]
	v_fma_f64 v[142:143], v[52:53], s[2:3], v[142:143]
	v_add_f64 v[52:53], v[152:153], -v[156:157]
	v_fma_f64 v[136:137], v[146:147], s[2:3], v[54:55]
	v_add_f64 v[54:55], v[164:165], -v[160:161]
	v_add_f64 v[52:53], v[52:53], v[54:55]
	v_add_f64 v[54:55], v[154:155], -v[158:159]
	v_add_f64 v[54:55], v[54:55], v[144:145]
	v_add_f64 v[144:145], v[156:157], v[160:161]
	s_waitcnt lgkmcnt(0)
	v_fma_f64 v[148:149], v[144:145], -0.5, v[120:121]
	v_add_f64 v[144:145], v[158:159], v[162:163]
	v_fma_f64 v[150:151], v[144:145], -0.5, v[122:123]
	v_fma_f64 v[144:145], v[185:186], s[18:19], v[148:149]
	v_fma_f64 v[148:149], v[185:186], s[16:17], v[148:149]
	;; [unrolled: 1-line block ×10, first 2 shown]
	v_add_f64 v[52:53], v[152:153], v[164:165]
	v_fma_f64 v[146:147], v[54:55], s[2:3], v[146:147]
	v_fma_f64 v[150:151], v[54:55], s[2:3], v[150:151]
	v_add_f64 v[54:55], v[154:155], v[166:167]
	v_fma_f64 v[52:53], v[52:53], -0.5, v[120:121]
	v_add_f64 v[120:121], v[120:121], v[152:153]
	v_add_f64 v[152:153], v[156:157], -v[152:153]
	v_fma_f64 v[54:55], v[54:55], -0.5, v[122:123]
	v_add_f64 v[122:123], v[122:123], v[154:155]
	v_add_f64 v[154:155], v[158:159], -v[154:155]
	v_add_f64 v[120:121], v[120:121], v[156:157]
	v_add_f64 v[156:157], v[160:161], -v[164:165]
	;; [unrolled: 2-line block ×3, first 2 shown]
	v_add_f64 v[120:121], v[120:121], v[160:161]
	v_fma_f64 v[160:161], v[187:188], s[16:17], v[52:53]
	v_fma_f64 v[52:53], v[187:188], s[18:19], v[52:53]
	v_add_f64 v[156:157], v[152:153], v[156:157]
	v_add_f64 v[187:188], v[174:175], -v[178:179]
	v_add_f64 v[122:123], v[122:123], v[162:163]
	v_fma_f64 v[162:163], v[252:253], s[18:19], v[54:55]
	v_fma_f64 v[54:55], v[252:253], s[16:17], v[54:55]
	v_add_f64 v[158:159], v[154:155], v[158:159]
	v_fma_f64 v[152:153], v[185:186], s[4:5], v[160:161]
	v_fma_f64 v[52:53], v[185:186], s[14:15], v[52:53]
	v_add_f64 v[160:161], v[183:184], -v[178:179]
	v_add_f64 v[120:121], v[120:121], v[164:165]
	v_add_f64 v[185:186], v[170:171], -v[183:184]
	v_add_f64 v[252:253], v[172:173], -v[176:177]
	v_add_f64 v[122:123], v[122:123], v[166:167]
	v_fma_f64 v[154:155], v[190:191], s[14:15], v[162:163]
	v_fma_f64 v[54:55], v[190:191], s[4:5], v[54:55]
	v_add_f64 v[190:191], v[168:169], -v[181:182]
	v_fma_f64 v[152:153], v[156:157], s[2:3], v[152:153]
	v_fma_f64 v[156:157], v[156:157], s[2:3], v[52:53]
	v_add_f64 v[52:53], v[168:169], -v[172:173]
	ds_write_b128 v180, v[72:75]
	ds_write_b128 v180, v[84:87] offset:896
	ds_write_b128 v180, v[56:59] offset:4480
	ds_write_b128 v180, v[4:7] offset:8960
	ds_write_b128 v180, v[64:67] offset:13440
	ds_write_b128 v180, v[60:63] offset:17920
	ds_write_b128 v180, v[76:79] offset:5376
	ds_write_b128 v180, v[88:91] offset:9856
	ds_write_b128 v180, v[92:95] offset:14336
	ds_write_b128 v180, v[68:71] offset:18816
	ds_write_b128 v180, v[132:135] offset:1792
	ds_write_b128 v180, v[124:127] offset:6272
	ds_write_b128 v180, v[136:139] offset:10752
	ds_write_b128 v180, v[140:143] offset:15232
	ds_write_b128 v180, v[128:131] offset:19712
	ds_write_b128 v180, v[120:123] offset:2688
	ds_write_b128 v180, v[144:147] offset:7168
	v_fma_f64 v[154:155], v[158:159], s[2:3], v[154:155]
	v_fma_f64 v[158:159], v[158:159], s[2:3], v[54:55]
	v_add_f64 v[54:55], v[181:182], -v[176:177]
	v_add_f64 v[52:53], v[52:53], v[54:55]
	v_add_f64 v[54:55], v[170:171], -v[174:175]
	v_add_f64 v[54:55], v[54:55], v[160:161]
	v_add_f64 v[160:161], v[172:173], v[176:177]
	v_fma_f64 v[164:165], v[160:161], -0.5, v[80:81]
	v_add_f64 v[160:161], v[174:175], v[178:179]
	v_fma_f64 v[166:167], v[160:161], -0.5, v[82:83]
	v_fma_f64 v[160:161], v[185:186], s[18:19], v[164:165]
	v_fma_f64 v[164:165], v[185:186], s[16:17], v[164:165]
	;; [unrolled: 1-line block ×10, first 2 shown]
	v_add_f64 v[164:165], v[168:169], v[181:182]
	v_fma_f64 v[162:163], v[54:55], s[2:3], v[162:163]
	v_fma_f64 v[54:55], v[54:55], s[2:3], v[166:167]
	v_add_f64 v[166:167], v[170:171], v[183:184]
	v_fma_f64 v[164:165], v[164:165], -0.5, v[80:81]
	v_add_f64 v[80:81], v[80:81], v[168:169]
	v_add_f64 v[168:169], v[172:173], -v[168:169]
	v_fma_f64 v[166:167], v[166:167], -0.5, v[82:83]
	v_add_f64 v[82:83], v[82:83], v[170:171]
	v_add_f64 v[170:171], v[174:175], -v[170:171]
	v_add_f64 v[80:81], v[80:81], v[172:173]
	v_fma_f64 v[172:173], v[187:188], s[16:17], v[164:165]
	v_fma_f64 v[164:165], v[187:188], s[18:19], v[164:165]
	v_add_f64 v[82:83], v[82:83], v[174:175]
	v_add_f64 v[174:175], v[176:177], -v[181:182]
	v_add_f64 v[80:81], v[80:81], v[176:177]
	v_add_f64 v[176:177], v[178:179], -v[183:184]
	v_fma_f64 v[172:173], v[185:186], s[4:5], v[172:173]
	v_add_f64 v[82:83], v[82:83], v[178:179]
	v_fma_f64 v[178:179], v[252:253], s[18:19], v[166:167]
	v_fma_f64 v[166:167], v[252:253], s[16:17], v[166:167]
	v_add_f64 v[168:169], v[168:169], v[174:175]
	v_add_f64 v[170:171], v[170:171], v[176:177]
	v_fma_f64 v[174:175], v[185:186], s[14:15], v[164:165]
	v_add_f64 v[80:81], v[80:81], v[181:182]
	v_add_f64 v[82:83], v[82:83], v[183:184]
	v_fma_f64 v[176:177], v[190:191], s[14:15], v[178:179]
	v_fma_f64 v[178:179], v[190:191], s[4:5], v[166:167]
	;; [unrolled: 1-line block ×6, first 2 shown]
	ds_write_b128 v180, v[152:155] offset:11648
	ds_write_b128 v180, v[156:159] offset:16128
	;; [unrolled: 1-line block ×7, first 2 shown]
	buffer_load_dword v4, off, s[36:39], 0  ; 4-byte Folded Reload
	s_add_u32 s2, s12, 0x5780
	s_addc_u32 s3, s13, 0
	ds_write_b128 v180, v[52:55] offset:21504
	s_waitcnt vmcnt(0) lgkmcnt(0)
	s_waitcnt_vscnt null, 0x0
	s_barrier
	buffer_gl0_inv
	v_lshlrev_b32_e32 v4, 4, v4
	v_add_co_u32 v134, s1, s2, v4
	v_add_co_ci_u32_e64 v135, null, s3, 0, s1
	global_load_dwordx4 v[56:59], v4, s[2:3]
	v_add_co_u32 v132, s1, 0x2800, v134
	v_add_co_ci_u32_e64 v133, s1, 0, v135, s1
	global_load_dwordx4 v[60:63], v[132:133], off offset:960
	ds_read_b128 v[64:67], v180
	ds_read_b128 v[68:71], v180 offset:896
	buffer_load_dword v5, off, s[36:39], 0 offset:500 ; 4-byte Folded Reload
	ds_read_b128 v[72:75], v180 offset:11200
	ds_read_b128 v[80:83], v180 offset:12096
	global_load_dwordx4 v[76:79], v[132:133], off offset:1856
	s_waitcnt vmcnt(1)
	global_load_dwordx4 v[136:139], v5, s[2:3]
	s_waitcnt lgkmcnt(3)
	v_mul_f64 v[5:6], v[66:67], v[58:59]
	v_mul_f64 v[58:59], v[64:65], v[58:59]
	v_fma_f64 v[64:65], v[64:65], v[56:57], -v[5:6]
	v_fma_f64 v[66:67], v[66:67], v[56:57], v[58:59]
	s_waitcnt lgkmcnt(1)
	v_mul_f64 v[5:6], v[74:75], v[62:63]
	v_mul_f64 v[58:59], v[72:73], v[62:63]
	v_fma_f64 v[56:57], v[72:73], v[60:61], -v[5:6]
	v_fma_f64 v[58:59], v[74:75], v[60:61], v[58:59]
	s_clause 0x1
	global_load_dwordx4 v[72:75], v4, s[2:3] offset:896
	global_load_dwordx4 v[4:7], v4, s[2:3] offset:1792
	s_waitcnt vmcnt(1)
	v_mul_f64 v[60:61], v[70:71], v[74:75]
	v_mul_f64 v[62:63], v[68:69], v[74:75]
	v_fma_f64 v[60:61], v[68:69], v[72:73], -v[60:61]
	v_fma_f64 v[62:63], v[70:71], v[72:73], v[62:63]
	s_waitcnt lgkmcnt(0)
	v_mul_f64 v[68:69], v[82:83], v[78:79]
	v_mul_f64 v[70:71], v[80:81], v[78:79]
	v_fma_f64 v[68:69], v[80:81], v[76:77], -v[68:69]
	v_fma_f64 v[70:71], v[82:83], v[76:77], v[70:71]
	ds_read_b128 v[72:75], v180 offset:1792
	ds_read_b128 v[80:83], v180 offset:2688
	s_waitcnt vmcnt(0) lgkmcnt(1)
	v_mul_f64 v[76:77], v[74:75], v[6:7]
	v_mul_f64 v[6:7], v[72:73], v[6:7]
	v_fma_f64 v[72:73], v[72:73], v[4:5], -v[76:77]
	v_add_co_u32 v76, s1, 0x3000, v134
	v_add_co_ci_u32_e64 v77, s1, 0, v135, s1
	v_fma_f64 v[74:75], v[74:75], v[4:5], v[6:7]
	s_clause 0x1
	global_load_dwordx4 v[4:7], v[76:77], off offset:704
	global_load_dwordx4 v[86:89], v[76:77], off offset:1600
	ds_read_b128 v[76:79], v180 offset:12992
	ds_read_b128 v[90:93], v180 offset:13888
	s_waitcnt vmcnt(1) lgkmcnt(1)
	v_mul_f64 v[84:85], v[78:79], v[6:7]
	v_mul_f64 v[6:7], v[76:77], v[6:7]
	v_fma_f64 v[76:77], v[76:77], v[4:5], -v[84:85]
	v_add_co_u32 v84, s1, 0x800, v134
	v_add_co_ci_u32_e64 v85, s1, 0, v135, s1
	v_fma_f64 v[78:79], v[78:79], v[4:5], v[6:7]
	s_clause 0x1
	global_load_dwordx4 v[4:7], v[84:85], off offset:640
	global_load_dwordx4 v[120:123], v[84:85], off offset:1536
	s_waitcnt vmcnt(1)
	v_mul_f64 v[84:85], v[82:83], v[6:7]
	v_mul_f64 v[6:7], v[80:81], v[6:7]
	v_fma_f64 v[80:81], v[80:81], v[4:5], -v[84:85]
	v_fma_f64 v[82:83], v[82:83], v[4:5], v[6:7]
	s_waitcnt lgkmcnt(0)
	v_mul_f64 v[4:5], v[92:93], v[88:89]
	v_mul_f64 v[6:7], v[90:91], v[88:89]
	v_fma_f64 v[84:85], v[90:91], v[86:87], -v[4:5]
	v_fma_f64 v[86:87], v[92:93], v[86:87], v[6:7]
	ds_read_b128 v[4:7], v180 offset:3584
	ds_read_b128 v[92:95], v180 offset:4480
	s_waitcnt vmcnt(0) lgkmcnt(1)
	v_mul_f64 v[88:89], v[6:7], v[122:123]
	v_mul_f64 v[90:91], v[4:5], v[122:123]
	v_fma_f64 v[88:89], v[4:5], v[120:121], -v[88:89]
	v_add_co_u32 v4, s1, 0x3800, v134
	v_add_co_ci_u32_e64 v5, s1, 0, v135, s1
	v_fma_f64 v[90:91], v[6:7], v[120:121], v[90:91]
	s_clause 0x1
	global_load_dwordx4 v[120:123], v[4:5], off offset:448
	global_load_dwordx4 v[124:127], v[4:5], off offset:1344
	ds_read_b128 v[4:7], v180 offset:14784
	ds_read_b128 v[128:131], v180 offset:15680
	s_waitcnt vmcnt(1) lgkmcnt(1)
	v_mul_f64 v[140:141], v[6:7], v[122:123]
	v_mul_f64 v[122:123], v[4:5], v[122:123]
	v_fma_f64 v[4:5], v[4:5], v[120:121], -v[140:141]
	v_add_co_u32 v140, s1, 0x1000, v134
	v_add_co_ci_u32_e64 v141, s1, 0, v135, s1
	v_fma_f64 v[6:7], v[6:7], v[120:121], v[122:123]
	s_clause 0x1
	global_load_dwordx4 v[120:123], v[140:141], off offset:384
	global_load_dwordx4 v[140:143], v[140:141], off offset:1280
	v_add_co_u32 v152, s1, 0x4000, v134
	v_add_co_ci_u32_e64 v153, s1, 0, v135, s1
	v_add_co_u32 v162, s1, 0x1800, v134
	v_add_co_ci_u32_e64 v163, s1, 0, v135, s1
	;; [unrolled: 2-line block ×3, first 2 shown]
	s_waitcnt vmcnt(1)
	v_mul_f64 v[144:145], v[94:95], v[122:123]
	v_mul_f64 v[122:123], v[92:93], v[122:123]
	v_fma_f64 v[92:93], v[92:93], v[120:121], -v[144:145]
	v_fma_f64 v[94:95], v[94:95], v[120:121], v[122:123]
	s_waitcnt lgkmcnt(0)
	v_mul_f64 v[120:121], v[130:131], v[126:127]
	v_mul_f64 v[122:123], v[128:129], v[126:127]
	v_fma_f64 v[252:253], v[128:129], v[124:125], -v[120:121]
	v_fma_f64 v[254:255], v[130:131], v[124:125], v[122:123]
	ds_read_b128 v[120:123], v180 offset:5376
	ds_read_b128 v[128:131], v180 offset:6272
	global_load_dwordx4 v[144:147], v[152:153], off offset:1088
	ds_read_b128 v[148:151], v180 offset:17472
	s_waitcnt vmcnt(1) lgkmcnt(2)
	v_mul_f64 v[124:125], v[122:123], v[142:143]
	v_mul_f64 v[126:127], v[120:121], v[142:143]
	v_fma_f64 v[120:121], v[120:121], v[140:141], -v[124:125]
	v_fma_f64 v[122:123], v[122:123], v[140:141], v[126:127]
	global_load_dwordx4 v[140:143], v[152:153], off offset:192
	ds_read_b128 v[124:127], v180 offset:16576
	s_waitcnt vmcnt(0) lgkmcnt(0)
	v_mul_f64 v[154:155], v[126:127], v[142:143]
	v_mul_f64 v[142:143], v[124:125], v[142:143]
	v_fma_f64 v[124:125], v[124:125], v[140:141], -v[154:155]
	v_fma_f64 v[126:127], v[126:127], v[140:141], v[142:143]
	s_clause 0x1
	global_load_dwordx4 v[140:143], v[152:153], off offset:1984
	global_load_dwordx4 v[152:155], v[162:163], off offset:128
	s_waitcnt vmcnt(0)
	v_mul_f64 v[156:157], v[130:131], v[154:155]
	v_mul_f64 v[154:155], v[128:129], v[154:155]
	v_fma_f64 v[128:129], v[128:129], v[152:153], -v[156:157]
	v_fma_f64 v[130:131], v[130:131], v[152:153], v[154:155]
	v_mul_f64 v[152:153], v[150:151], v[146:147]
	v_mul_f64 v[154:155], v[148:149], v[146:147]
	v_fma_f64 v[146:147], v[148:149], v[144:145], -v[152:153]
	v_fma_f64 v[148:149], v[150:151], v[144:145], v[154:155]
	ds_read_b128 v[150:153], v180 offset:7168
	ds_read_b128 v[154:157], v180 offset:8064
	s_waitcnt lgkmcnt(1)
	v_mul_f64 v[144:145], v[152:153], v[138:139]
	v_mul_f64 v[138:139], v[150:151], v[138:139]
	v_fma_f64 v[150:151], v[150:151], v[136:137], -v[144:145]
	v_fma_f64 v[152:153], v[152:153], v[136:137], v[138:139]
	ds_read_b128 v[136:139], v180 offset:18368
	ds_read_b128 v[158:161], v180 offset:19264
	s_waitcnt lgkmcnt(1)
	v_mul_f64 v[144:145], v[138:139], v[142:143]
	v_mul_f64 v[142:143], v[136:137], v[142:143]
	v_fma_f64 v[136:137], v[136:137], v[140:141], -v[144:145]
	v_fma_f64 v[138:139], v[138:139], v[140:141], v[142:143]
	s_clause 0x1
	global_load_dwordx4 v[140:143], v[162:163], off offset:1920
	global_load_dwordx4 v[162:165], v[166:167], off offset:832
	s_waitcnt vmcnt(1)
	v_mul_f64 v[144:145], v[156:157], v[142:143]
	v_mul_f64 v[168:169], v[154:155], v[142:143]
	v_fma_f64 v[142:143], v[154:155], v[140:141], -v[144:145]
	v_fma_f64 v[144:145], v[156:157], v[140:141], v[168:169]
	s_waitcnt vmcnt(0) lgkmcnt(0)
	v_mul_f64 v[140:141], v[160:161], v[164:165]
	v_mul_f64 v[156:157], v[158:159], v[164:165]
	v_fma_f64 v[154:155], v[158:159], v[162:163], -v[140:141]
	v_add_co_u32 v140, s1, 0x2000, v134
	v_add_co_ci_u32_e64 v141, s1, 0, v135, s1
	v_fma_f64 v[156:157], v[160:161], v[162:163], v[156:157]
	s_clause 0x1
	global_load_dwordx4 v[158:161], v[166:167], off offset:1728
	global_load_dwordx4 v[162:165], v[140:141], off offset:768
	ds_read_b128 v[172:175], v180 offset:8960
	ds_read_b128 v[176:179], v180 offset:9856
	v_add_co_u32 v134, s1, 0x5000, v134
	v_add_co_ci_u32_e64 v135, s1, 0, v135, s1
	s_waitcnt vmcnt(0) lgkmcnt(1)
	v_mul_f64 v[166:167], v[174:175], v[164:165]
	v_mul_f64 v[168:169], v[172:173], v[164:165]
	v_fma_f64 v[164:165], v[172:173], v[162:163], -v[166:167]
	v_fma_f64 v[166:167], v[174:175], v[162:163], v[168:169]
	ds_read_b128 v[172:175], v180 offset:20160
	ds_read_b128 v[168:171], v180 offset:21056
	s_waitcnt lgkmcnt(1)
	v_mul_f64 v[162:163], v[174:175], v[160:161]
	v_mul_f64 v[181:182], v[172:173], v[160:161]
	v_fma_f64 v[160:161], v[172:173], v[158:159], -v[162:163]
	v_fma_f64 v[162:163], v[174:175], v[158:159], v[181:182]
	s_clause 0x1
	global_load_dwordx4 v[172:175], v[140:141], off offset:1664
	global_load_dwordx4 v[181:184], v[134:135], off offset:576
	s_waitcnt vmcnt(1)
	v_mul_f64 v[140:141], v[178:179], v[174:175]
	v_mul_f64 v[158:159], v[176:177], v[174:175]
	v_fma_f64 v[174:175], v[176:177], v[172:173], -v[140:141]
	v_fma_f64 v[176:177], v[178:179], v[172:173], v[158:159]
	s_waitcnt vmcnt(0) lgkmcnt(0)
	v_mul_f64 v[140:141], v[170:171], v[183:184]
	v_mul_f64 v[158:159], v[168:169], v[183:184]
	v_fma_f64 v[168:169], v[168:169], v[181:182], -v[140:141]
	v_fma_f64 v[170:171], v[170:171], v[181:182], v[158:159]
	ds_write_b128 v180, v[64:67]
	ds_write_b128 v180, v[56:59] offset:11200
	ds_write_b128 v180, v[60:63] offset:896
	ds_write_b128 v180, v[68:71] offset:12096
	ds_write_b128 v180, v[72:75] offset:1792
	ds_write_b128 v180, v[76:79] offset:12992
	ds_write_b128 v180, v[80:83] offset:2688
	ds_write_b128 v180, v[84:87] offset:13888
	ds_write_b128 v180, v[88:91] offset:3584
	ds_write_b128 v180, v[4:7] offset:14784
	ds_write_b128 v180, v[92:95] offset:4480
	ds_write_b128 v180, v[252:255] offset:15680
	ds_write_b128 v180, v[120:123] offset:5376
	ds_write_b128 v180, v[124:127] offset:16576
	ds_write_b128 v180, v[128:131] offset:6272
	ds_write_b128 v180, v[146:149] offset:17472
	ds_write_b128 v180, v[150:153] offset:7168
	ds_write_b128 v180, v[136:139] offset:18368
	ds_write_b128 v180, v[142:145] offset:8064
	ds_write_b128 v180, v[154:157] offset:19264
	ds_write_b128 v180, v[164:167] offset:8960
	ds_write_b128 v180, v[160:163] offset:20160
	ds_write_b128 v180, v[174:177] offset:9856
	ds_write_b128 v180, v[168:171] offset:21056
	s_and_saveexec_b32 s1, vcc_lo
	s_cbranch_execz .LBB0_21
; %bb.20:
	s_clause 0x1
	global_load_dwordx4 v[4:7], v[132:133], off offset:512
	global_load_dwordx4 v[56:59], v[134:135], off offset:1472
	ds_read_b128 v[60:63], v180 offset:10752
	ds_read_b128 v[64:67], v180 offset:21952
	s_waitcnt vmcnt(1) lgkmcnt(1)
	v_mul_f64 v[68:69], v[62:63], v[6:7]
	v_mul_f64 v[6:7], v[60:61], v[6:7]
	s_waitcnt vmcnt(0) lgkmcnt(0)
	v_mul_f64 v[70:71], v[66:67], v[58:59]
	v_mul_f64 v[72:73], v[64:65], v[58:59]
	v_fma_f64 v[58:59], v[60:61], v[4:5], -v[68:69]
	v_fma_f64 v[60:61], v[62:63], v[4:5], v[6:7]
	v_fma_f64 v[4:5], v[64:65], v[56:57], -v[70:71]
	v_fma_f64 v[6:7], v[66:67], v[56:57], v[72:73]
	ds_write_b128 v180, v[58:61] offset:10752
	ds_write_b128 v180, v[4:7] offset:21952
.LBB0_21:
	s_or_b32 exec_lo, exec_lo, s1
	s_waitcnt lgkmcnt(0)
	s_barrier
	buffer_gl0_inv
	ds_read_b128 v[56:59], v180
	ds_read_b128 v[120:123], v180 offset:896
	ds_read_b128 v[164:167], v180 offset:11200
	;; [unrolled: 1-line block ×23, first 2 shown]
	s_and_saveexec_b32 s1, vcc_lo
	s_cbranch_execz .LBB0_23
; %bb.22:
	ds_read_b128 v[52:55], v180 offset:10752
	ds_read_b128 v[48:51], v180 offset:21952
.LBB0_23:
	s_or_b32 exec_lo, exec_lo, s1
	s_waitcnt lgkmcnt(21)
	v_add_f64 v[164:165], v[56:57], -v[164:165]
	s_waitcnt lgkmcnt(0)
	s_barrier
	buffer_gl0_inv
	v_add_f64 v[166:167], v[58:59], -v[166:167]
	v_add_f64 v[160:161], v[120:121], -v[160:161]
	;; [unrolled: 1-line block ×18, first 2 shown]
	v_fma_f64 v[172:173], v[56:57], 2.0, -v[164:165]
	v_add_f64 v[56:57], v[52:53], -v[48:49]
	v_add_f64 v[170:171], v[86:87], -v[254:255]
	;; [unrolled: 1-line block ×3, first 2 shown]
	v_fma_f64 v[174:175], v[58:59], 2.0, -v[166:167]
	v_fma_f64 v[120:121], v[120:121], 2.0, -v[160:161]
	;; [unrolled: 1-line block ×18, first 2 shown]
	v_add_f64 v[130:131], v[90:91], -v[130:131]
	v_fma_f64 v[48:49], v[52:53], 2.0, -v[56:57]
	buffer_load_dword v52, off, s[36:39], 0 offset:452 ; 4-byte Folded Reload
	v_fma_f64 v[86:87], v[86:87], 2.0, -v[170:171]
	v_fma_f64 v[88:89], v[88:89], 2.0, -v[128:129]
	v_add_f64 v[124:125], v[92:93], -v[124:125]
	v_add_f64 v[126:127], v[94:95], -v[126:127]
	;; [unrolled: 1-line block ×3, first 2 shown]
	s_waitcnt vmcnt(0)
	ds_write_b128 v52, v[172:175]
	ds_write_b128 v52, v[164:167] offset:16
	buffer_load_dword v52, off, s[36:39], 0 offset:456 ; 4-byte Folded Reload
	v_fma_f64 v[90:91], v[90:91], 2.0, -v[130:131]
	v_fma_f64 v[92:93], v[92:93], 2.0, -v[124:125]
	;; [unrolled: 1-line block ×4, first 2 shown]
	s_waitcnt vmcnt(0)
	ds_write_b128 v52, v[120:123]
	ds_write_b128 v52, v[160:163] offset:16
	buffer_load_dword v52, off, s[36:39], 0 offset:460 ; 4-byte Folded Reload
	s_waitcnt vmcnt(0)
	ds_write_b128 v52, v[4:7]
	ds_write_b128 v52, v[156:159] offset:16
	buffer_load_dword v4, off, s[36:39], 0 offset:464 ; 4-byte Folded Reload
	;; [unrolled: 4-line block ×10, first 2 shown]
	s_waitcnt vmcnt(0)
	ds_write_b128 v4, v[92:95]
	ds_write_b128 v4, v[124:127] offset:16
	s_and_saveexec_b32 s1, vcc_lo
	s_cbranch_execz .LBB0_25
; %bb.24:
	buffer_load_dword v4, off, s[36:39], 0 offset:828 ; 4-byte Folded Reload
	s_waitcnt vmcnt(0)
	ds_write_b128 v4, v[48:51]
	ds_write_b128 v4, v[56:59] offset:16
.LBB0_25:
	s_or_b32 exec_lo, exec_lo, s1
	s_waitcnt lgkmcnt(0)
	s_barrier
	buffer_gl0_inv
	ds_read_b128 v[252:255], v180
	ds_read_b128 v[4:7], v180 offset:896
	ds_read_b128 v[164:167], v180 offset:11200
	;; [unrolled: 1-line block ×23, first 2 shown]
	s_and_saveexec_b32 s1, vcc_lo
	s_cbranch_execz .LBB0_27
; %bb.26:
	ds_read_b128 v[48:51], v180 offset:10752
	ds_read_b128 v[56:59], v180 offset:21952
.LBB0_27:
	s_or_b32 exec_lo, exec_lo, s1
	s_waitcnt lgkmcnt(21)
	v_mul_f64 v[168:169], v[114:115], v[166:167]
	v_mul_f64 v[170:171], v[114:115], v[164:165]
	s_waitcnt lgkmcnt(0)
	s_barrier
	buffer_gl0_inv
	v_fma_f64 v[164:165], v[112:113], v[164:165], v[168:169]
	v_mul_f64 v[168:169], v[114:115], v[162:163]
	v_fma_f64 v[166:167], v[112:113], v[166:167], -v[170:171]
	v_mul_f64 v[170:171], v[114:115], v[160:161]
	v_fma_f64 v[160:161], v[112:113], v[160:161], v[168:169]
	v_mul_f64 v[168:169], v[114:115], v[158:159]
	v_fma_f64 v[162:163], v[112:113], v[162:163], -v[170:171]
	v_mul_f64 v[170:171], v[114:115], v[156:157]
	;; [unrolled: 4-line block ×6, first 2 shown]
	v_add_f64 v[136:137], v[68:69], -v[136:137]
	v_fma_f64 v[144:145], v[112:113], v[144:145], v[168:169]
	v_mul_f64 v[168:169], v[114:115], v[142:143]
	v_fma_f64 v[146:147], v[112:113], v[146:147], -v[170:171]
	v_mul_f64 v[170:171], v[114:115], v[140:141]
	v_add_f64 v[138:139], v[70:71], -v[138:139]
	v_fma_f64 v[68:69], v[68:69], 2.0, -v[136:137]
	v_add_f64 v[144:145], v[72:73], -v[144:145]
	v_fma_f64 v[168:169], v[112:113], v[140:141], v[168:169]
	v_mul_f64 v[140:141], v[114:115], v[134:135]
	v_fma_f64 v[170:171], v[112:113], v[142:143], -v[170:171]
	v_mul_f64 v[142:143], v[114:115], v[132:133]
	v_fma_f64 v[70:71], v[70:71], 2.0, -v[138:139]
	v_add_f64 v[146:147], v[74:75], -v[146:147]
	v_fma_f64 v[72:73], v[72:73], 2.0, -v[144:145]
	v_fma_f64 v[172:173], v[112:113], v[132:133], v[140:141]
	v_mul_f64 v[132:133], v[114:115], v[130:131]
	v_fma_f64 v[174:175], v[112:113], v[134:135], -v[142:143]
	v_mul_f64 v[134:135], v[114:115], v[128:129]
	v_fma_f64 v[74:75], v[74:75], 2.0, -v[146:147]
	v_fma_f64 v[176:177], v[112:113], v[128:129], v[132:133]
	v_mul_f64 v[128:129], v[114:115], v[126:127]
	v_fma_f64 v[178:179], v[112:113], v[130:131], -v[134:135]
	v_mul_f64 v[130:131], v[114:115], v[124:125]
	v_add_f64 v[132:133], v[64:65], -v[148:149]
	v_add_f64 v[148:149], v[76:77], -v[168:169]
	;; [unrolled: 1-line block ×4, first 2 shown]
	v_fma_f64 v[181:182], v[112:113], v[124:125], v[128:129]
	v_mul_f64 v[128:129], v[114:115], v[58:59]
	v_fma_f64 v[183:184], v[112:113], v[126:127], -v[130:131]
	v_mul_f64 v[124:125], v[114:115], v[122:123]
	v_mul_f64 v[126:127], v[114:115], v[120:121]
	;; [unrolled: 1-line block ×3, first 2 shown]
	v_add_f64 v[130:131], v[62:63], -v[154:155]
	v_fma_f64 v[64:65], v[64:65], 2.0, -v[132:133]
	v_fma_f64 v[66:67], v[66:67], 2.0, -v[134:135]
	;; [unrolled: 1-line block ×4, first 2 shown]
	v_add_f64 v[154:155], v[82:83], -v[174:175]
	v_fma_f64 v[190:191], v[112:113], v[56:57], v[128:129]
	v_add_f64 v[56:57], v[52:53], -v[156:157]
	v_fma_f64 v[185:186], v[112:113], v[120:121], v[124:125]
	v_fma_f64 v[187:188], v[112:113], v[122:123], -v[126:127]
	v_fma_f64 v[114:115], v[112:113], v[58:59], -v[114:115]
	v_add_f64 v[120:121], v[252:253], -v[164:165]
	v_add_f64 v[122:123], v[254:255], -v[166:167]
	v_add_f64 v[124:125], v[4:5], -v[160:161]
	v_add_f64 v[126:127], v[6:7], -v[162:163]
	v_add_f64 v[58:59], v[54:55], -v[158:159]
	v_add_f64 v[128:129], v[60:61], -v[152:153]
	v_fma_f64 v[62:63], v[62:63], 2.0, -v[130:131]
	v_add_f64 v[152:153], v[80:81], -v[172:173]
	v_fma_f64 v[82:83], v[82:83], 2.0, -v[154:155]
	v_add_f64 v[156:157], v[84:85], -v[176:177]
	v_add_f64 v[158:159], v[86:87], -v[178:179]
	;; [unrolled: 1-line block ×5, first 2 shown]
	v_fma_f64 v[168:169], v[52:53], 2.0, -v[56:57]
	v_add_f64 v[164:165], v[92:93], -v[185:186]
	v_add_f64 v[166:167], v[94:95], -v[187:188]
	;; [unrolled: 1-line block ×3, first 2 shown]
	v_fma_f64 v[140:141], v[252:253], 2.0, -v[120:121]
	v_fma_f64 v[142:143], v[254:255], 2.0, -v[122:123]
	v_fma_f64 v[4:5], v[4:5], 2.0, -v[124:125]
	v_fma_f64 v[6:7], v[6:7], 2.0, -v[126:127]
	v_fma_f64 v[170:171], v[54:55], 2.0, -v[58:59]
	v_fma_f64 v[60:61], v[60:61], 2.0, -v[128:129]
	v_fma_f64 v[80:81], v[80:81], 2.0, -v[152:153]
	v_fma_f64 v[84:85], v[84:85], 2.0, -v[156:157]
	v_fma_f64 v[86:87], v[86:87], 2.0, -v[158:159]
	v_fma_f64 v[88:89], v[88:89], 2.0, -v[160:161]
	v_fma_f64 v[90:91], v[90:91], 2.0, -v[162:163]
	v_fma_f64 v[52:53], v[48:49], 2.0, -v[112:113]
	buffer_load_dword v48, off, s[36:39], 0 offset:528 ; 4-byte Folded Reload
	v_fma_f64 v[92:93], v[92:93], 2.0, -v[164:165]
	v_fma_f64 v[94:95], v[94:95], 2.0, -v[166:167]
	v_fma_f64 v[54:55], v[50:51], 2.0, -v[114:115]
	s_waitcnt vmcnt(0)
	ds_write_b128 v48, v[140:143]
	ds_write_b128 v48, v[120:123] offset:32
	buffer_load_dword v48, off, s[36:39], 0 offset:544 ; 4-byte Folded Reload
	s_waitcnt vmcnt(0)
	ds_write_b128 v48, v[4:7]
	ds_write_b128 v48, v[124:127] offset:32
	buffer_load_dword v4, off, s[36:39], 0 offset:548 ; 4-byte Folded Reload
	;; [unrolled: 4-line block ×11, first 2 shown]
	s_waitcnt vmcnt(0)
	ds_write_b128 v4, v[92:95]
	ds_write_b128 v4, v[164:167] offset:32
	s_and_saveexec_b32 s1, vcc_lo
	s_cbranch_execz .LBB0_29
; %bb.28:
	s_clause 0x1
	buffer_load_dword v4, off, s[36:39], 0 offset:4
	buffer_load_dword v5, off, s[36:39], 0 offset:820
	s_waitcnt vmcnt(0)
	v_and_or_b32 v4, 0x57c, v4, v5
	v_lshlrev_b32_e32 v4, 4, v4
	ds_write_b128 v4, v[52:55]
	ds_write_b128 v4, v[112:115] offset:32
.LBB0_29:
	s_or_b32 exec_lo, exec_lo, s1
	s_waitcnt lgkmcnt(0)
	s_barrier
	buffer_gl0_inv
	ds_read_b128 v[4:7], v180
	ds_read_b128 v[48:51], v180 offset:896
	ds_read_b128 v[160:163], v180 offset:11200
	;; [unrolled: 1-line block ×23, first 2 shown]
	s_and_saveexec_b32 s1, vcc_lo
	s_cbranch_execz .LBB0_31
; %bb.30:
	ds_read_b128 v[52:55], v180 offset:10752
	ds_read_b128 v[112:115], v180 offset:21952
.LBB0_31:
	s_or_b32 exec_lo, exec_lo, s1
	s_waitcnt lgkmcnt(17)
	v_mul_f64 v[168:169], v[118:119], v[158:159]
	v_mul_f64 v[170:171], v[118:119], v[156:157]
	;; [unrolled: 1-line block ×4, first 2 shown]
	s_waitcnt lgkmcnt(0)
	s_barrier
	buffer_gl0_inv
	v_fma_f64 v[156:157], v[116:117], v[156:157], v[168:169]
	v_mul_f64 v[168:169], v[118:119], v[154:155]
	v_fma_f64 v[158:159], v[116:117], v[158:159], -v[170:171]
	v_mul_f64 v[170:171], v[118:119], v[152:153]
	v_fma_f64 v[160:161], v[116:117], v[160:161], v[164:165]
	v_mul_f64 v[164:165], v[118:119], v[254:255]
	v_fma_f64 v[162:163], v[116:117], v[162:163], -v[166:167]
	v_mul_f64 v[166:167], v[118:119], v[252:253]
	;; [unrolled: 4-line block ×3, first 2 shown]
	v_fma_f64 v[164:165], v[116:117], v[252:253], v[164:165]
	v_fma_f64 v[166:167], v[116:117], v[254:255], -v[166:167]
	v_fma_f64 v[148:149], v[116:117], v[148:149], v[168:169]
	v_mul_f64 v[168:169], v[118:119], v[138:139]
	v_fma_f64 v[150:151], v[116:117], v[150:151], -v[170:171]
	v_mul_f64 v[170:171], v[118:119], v[136:137]
	v_fma_f64 v[136:137], v[116:117], v[136:137], v[168:169]
	v_mul_f64 v[168:169], v[118:119], v[146:147]
	v_fma_f64 v[138:139], v[116:117], v[138:139], -v[170:171]
	v_mul_f64 v[170:171], v[118:119], v[144:145]
	;; [unrolled: 4-line block ×4, first 2 shown]
	v_add_f64 v[140:141], v[80:81], -v[140:141]
	v_fma_f64 v[168:169], v[116:117], v[132:133], v[168:169]
	v_mul_f64 v[132:133], v[118:119], v[130:131]
	v_fma_f64 v[170:171], v[116:117], v[134:135], -v[170:171]
	v_mul_f64 v[134:135], v[118:119], v[128:129]
	v_add_f64 v[142:143], v[82:83], -v[142:143]
	v_fma_f64 v[80:81], v[80:81], 2.0, -v[140:141]
	v_fma_f64 v[172:173], v[116:117], v[128:129], v[132:133]
	v_mul_f64 v[128:129], v[118:119], v[126:127]
	v_fma_f64 v[174:175], v[116:117], v[130:131], -v[134:135]
	v_mul_f64 v[130:131], v[118:119], v[124:125]
	v_add_f64 v[132:133], v[72:73], -v[136:137]
	v_add_f64 v[134:135], v[74:75], -v[138:139]
	;; [unrolled: 1-line block ×4, first 2 shown]
	v_fma_f64 v[82:83], v[82:83], 2.0, -v[142:143]
	v_add_f64 v[144:145], v[84:85], -v[168:169]
	v_add_f64 v[146:147], v[86:87], -v[170:171]
	v_fma_f64 v[176:177], v[116:117], v[124:125], v[128:129]
	v_mul_f64 v[124:125], v[118:119], v[122:123]
	v_fma_f64 v[178:179], v[116:117], v[126:127], -v[130:131]
	v_mul_f64 v[126:127], v[118:119], v[120:121]
	v_add_f64 v[128:129], v[68:69], -v[148:149]
	v_add_f64 v[130:131], v[70:71], -v[150:151]
	v_fma_f64 v[72:73], v[72:73], 2.0, -v[132:133]
	v_fma_f64 v[74:75], v[74:75], 2.0, -v[134:135]
	;; [unrolled: 1-line block ×6, first 2 shown]
	v_add_f64 v[148:149], v[88:89], -v[172:173]
	v_add_f64 v[150:151], v[90:91], -v[174:175]
	v_fma_f64 v[181:182], v[116:117], v[120:121], v[124:125]
	v_mul_f64 v[124:125], v[118:119], v[114:115]
	v_mul_f64 v[118:119], v[118:119], v[112:113]
	v_fma_f64 v[183:184], v[116:117], v[122:123], -v[126:127]
	v_add_f64 v[120:121], v[4:5], -v[160:161]
	v_add_f64 v[122:123], v[6:7], -v[162:163]
	;; [unrolled: 1-line block ×3, first 2 shown]
	v_fma_f64 v[68:69], v[68:69], 2.0, -v[128:129]
	v_fma_f64 v[70:71], v[70:71], 2.0, -v[130:131]
	v_add_f64 v[154:155], v[94:95], -v[178:179]
	v_fma_f64 v[88:89], v[88:89], 2.0, -v[148:149]
	v_fma_f64 v[90:91], v[90:91], 2.0, -v[150:151]
	v_fma_f64 v[185:186], v[116:117], v[112:113], v[124:125]
	v_add_f64 v[112:113], v[48:49], -v[164:165]
	buffer_load_dword v164, off, s[36:39], 0 offset:600 ; 4-byte Folded Reload
	v_fma_f64 v[4:5], v[4:5], 2.0, -v[120:121]
	v_fma_f64 v[6:7], v[6:7], 2.0, -v[122:123]
	v_fma_f64 v[187:188], v[116:117], v[114:115], -v[118:119]
	v_add_f64 v[114:115], v[50:51], -v[166:167]
	v_add_f64 v[116:117], v[56:57], -v[156:157]
	v_add_f64 v[118:119], v[58:59], -v[158:159]
	v_add_f64 v[124:125], v[60:61], -v[152:153]
	v_fma_f64 v[62:63], v[62:63], 2.0, -v[126:127]
	v_add_f64 v[152:153], v[92:93], -v[176:177]
	v_fma_f64 v[94:95], v[94:95], 2.0, -v[154:155]
	v_add_f64 v[156:157], v[64:65], -v[181:182]
	v_add_f64 v[158:159], v[66:67], -v[183:184]
	s_waitcnt vmcnt(0)
	ds_write_b128 v164, v[4:7]
	ds_write_b128 v164, v[120:123] offset:64
	buffer_load_dword v4, off, s[36:39], 0 offset:596 ; 4-byte Folded Reload
	v_fma_f64 v[160:161], v[48:49], 2.0, -v[112:113]
	v_fma_f64 v[162:163], v[50:51], 2.0, -v[114:115]
	;; [unrolled: 1-line block ×8, first 2 shown]
	v_add_f64 v[48:49], v[52:53], -v[185:186]
	v_add_f64 v[50:51], v[54:55], -v[187:188]
	s_waitcnt vmcnt(0)
	ds_write_b128 v4, v[160:163]
	ds_write_b128 v4, v[112:115] offset:64
	buffer_load_dword v4, off, s[36:39], 0 offset:588 ; 4-byte Folded Reload
	s_waitcnt vmcnt(0)
	ds_write_b128 v4, v[56:59]
	ds_write_b128 v4, v[116:119] offset:64
	buffer_load_dword v4, off, s[36:39], 0 offset:584 ; 4-byte Folded Reload
	;; [unrolled: 4-line block ×10, first 2 shown]
	s_waitcnt vmcnt(0)
	ds_write_b128 v4, v[64:67]
	ds_write_b128 v4, v[156:159] offset:64
	s_and_saveexec_b32 s1, vcc_lo
	s_cbranch_execz .LBB0_33
; %bb.32:
	v_fma_f64 v[4:5], v[52:53], 2.0, -v[48:49]
	s_clause 0x1
	buffer_load_dword v52, off, s[36:39], 0 offset:4
	buffer_load_dword v53, off, s[36:39], 0 offset:824
	v_fma_f64 v[6:7], v[54:55], 2.0, -v[50:51]
	s_waitcnt vmcnt(0)
	v_and_or_b32 v52, 0x578, v52, v53
	v_lshlrev_b32_e32 v52, 4, v52
	ds_write_b128 v52, v[4:7]
	ds_write_b128 v52, v[48:51] offset:64
.LBB0_33:
	s_or_b32 exec_lo, exec_lo, s1
	s_waitcnt lgkmcnt(0)
	s_barrier
	buffer_gl0_inv
	ds_read_b128 v[52:55], v180 offset:4480
	ds_read_b128 v[112:115], v180 offset:5376
	;; [unrolled: 1-line block ×16, first 2 shown]
	s_mov_b32 s2, 0x134454ff
	s_mov_b32 s3, 0xbfee6f0e
	;; [unrolled: 1-line block ×7, first 2 shown]
	s_waitcnt lgkmcnt(15)
	v_mul_f64 v[128:129], v[110:111], v[54:55]
	v_mul_f64 v[130:131], v[110:111], v[52:53]
	s_waitcnt lgkmcnt(14)
	v_mul_f64 v[132:133], v[110:111], v[114:115]
	v_mul_f64 v[134:135], v[110:111], v[112:113]
	;; [unrolled: 3-line block ×6, first 2 shown]
	v_mul_f64 v[150:151], v[102:103], v[58:59]
	s_waitcnt lgkmcnt(8)
	v_mul_f64 v[152:153], v[106:107], v[62:63]
	v_mul_f64 v[154:155], v[106:107], v[60:61]
	s_waitcnt lgkmcnt(7)
	v_mul_f64 v[156:157], v[106:107], v[78:79]
	;; [unrolled: 3-line block ×3, first 2 shown]
	s_mov_b32 s14, s12
	s_mov_b32 s16, 0x372fe950
	;; [unrolled: 1-line block ×3, first 2 shown]
	v_fma_f64 v[128:129], v[108:109], v[52:53], v[128:129]
	v_fma_f64 v[130:131], v[108:109], v[54:55], -v[130:131]
	v_fma_f64 v[112:113], v[108:109], v[112:113], v[132:133]
	v_fma_f64 v[114:115], v[108:109], v[114:115], -v[134:135]
	v_fma_f64 v[116:117], v[108:109], v[116:117], v[136:137]
	v_fma_f64 v[118:119], v[108:109], v[118:119], -v[138:139]
	v_mul_f64 v[132:133], v[106:107], v[80:81]
	v_fma_f64 v[134:135], v[108:109], v[72:73], v[140:141]
	v_fma_f64 v[136:137], v[108:109], v[74:75], -v[142:143]
	s_waitcnt lgkmcnt(0)
	v_mul_f64 v[72:73], v[106:107], v[126:127]
	v_mul_f64 v[74:75], v[106:107], v[124:125]
	v_fma_f64 v[106:107], v[108:109], v[68:69], v[144:145]
	v_fma_f64 v[140:141], v[108:109], v[70:71], -v[110:111]
	v_mul_f64 v[108:109], v[102:103], v[56:57]
	ds_read_b128 v[52:55], v180 offset:16128
	ds_read_b128 v[68:71], v180 offset:17024
	v_mul_f64 v[110:111], v[98:99], v[86:87]
	v_fma_f64 v[138:139], v[104:105], v[64:65], v[146:147]
	v_fma_f64 v[142:143], v[104:105], v[66:67], -v[148:149]
	v_mul_f64 v[144:145], v[98:99], v[84:85]
	v_mul_f64 v[146:147], v[102:103], v[94:95]
	v_fma_f64 v[148:149], v[104:105], v[60:61], v[152:153]
	v_fma_f64 v[152:153], v[104:105], v[62:63], -v[154:155]
	v_mul_f64 v[154:155], v[102:103], v[92:93]
	v_fma_f64 v[150:151], v[100:101], v[56:57], v[150:151]
	v_mul_f64 v[56:57], v[102:103], v[122:123]
	v_fma_f64 v[156:157], v[104:105], v[76:77], v[156:157]
	v_fma_f64 v[158:159], v[104:105], v[78:79], -v[158:159]
	v_mul_f64 v[76:77], v[102:103], v[120:121]
	v_fma_f64 v[160:161], v[104:105], v[80:81], v[160:161]
	v_fma_f64 v[132:133], v[104:105], v[82:83], -v[132:133]
	ds_read_b128 v[60:63], v180 offset:19712
	ds_read_b128 v[64:67], v180 offset:20608
	v_fma_f64 v[162:163], v[104:105], v[124:125], v[72:73]
	s_waitcnt lgkmcnt(3)
	v_mul_f64 v[78:79], v[102:103], v[54:55]
	v_mul_f64 v[80:81], v[102:103], v[52:53]
	s_waitcnt lgkmcnt(2)
	v_mul_f64 v[82:83], v[102:103], v[70:71]
	v_mul_f64 v[102:103], v[102:103], v[68:69]
	v_fma_f64 v[108:109], v[100:101], v[58:59], -v[108:109]
	v_fma_f64 v[104:105], v[104:105], v[126:127], -v[74:75]
	ds_read_b128 v[72:75], v180 offset:21504
	v_fma_f64 v[84:85], v[96:97], v[84:85], v[110:111]
	v_mul_f64 v[110:111], v[98:99], v[90:91]
	v_fma_f64 v[86:87], v[96:97], v[86:87], -v[144:145]
	v_mul_f64 v[124:125], v[98:99], v[88:89]
	v_fma_f64 v[92:93], v[100:101], v[92:93], v[146:147]
	v_fma_f64 v[94:95], v[100:101], v[94:95], -v[154:155]
	v_add_f64 v[126:127], v[138:139], v[150:151]
	v_fma_f64 v[120:121], v[100:101], v[120:121], v[56:57]
	ds_read_b128 v[56:59], v180
	v_fma_f64 v[122:123], v[100:101], v[122:123], -v[76:77]
	s_waitcnt lgkmcnt(3)
	v_mul_f64 v[76:77], v[98:99], v[62:63]
	v_mul_f64 v[144:145], v[98:99], v[60:61]
	s_waitcnt lgkmcnt(2)
	v_mul_f64 v[154:155], v[98:99], v[64:65]
	v_fma_f64 v[146:147], v[100:101], v[52:53], v[78:79]
	v_mul_f64 v[78:79], v[98:99], v[66:67]
	v_fma_f64 v[164:165], v[100:101], v[54:55], -v[80:81]
	ds_read_b128 v[52:55], v180 offset:896
	v_fma_f64 v[166:167], v[100:101], v[68:69], v[82:83]
	s_waitcnt lgkmcnt(2)
	v_mul_f64 v[68:69], v[98:99], v[74:75]
	v_mul_f64 v[80:81], v[98:99], v[72:73]
	v_fma_f64 v[98:99], v[100:101], v[70:71], -v[102:103]
	v_add_f64 v[70:71], v[142:143], v[108:109]
	v_add_f64 v[82:83], v[128:129], v[84:85]
	v_fma_f64 v[90:91], v[96:97], v[90:91], -v[124:125]
	v_add_f64 v[102:103], v[130:131], -v[86:87]
	v_fma_f64 v[88:89], v[96:97], v[88:89], v[110:111]
	s_waitcnt lgkmcnt(1)
	v_fma_f64 v[100:101], v[126:127], -0.5, v[56:57]
	v_add_f64 v[110:111], v[130:131], v[86:87]
	v_fma_f64 v[124:125], v[96:97], v[60:61], v[76:77]
	v_fma_f64 v[126:127], v[96:97], v[62:63], -v[144:145]
	v_add_f64 v[60:61], v[56:57], v[128:129]
	v_fma_f64 v[154:155], v[96:97], v[66:67], -v[154:155]
	v_add_f64 v[62:63], v[58:59], v[130:131]
	v_add_f64 v[66:67], v[84:85], -v[150:151]
	v_fma_f64 v[144:145], v[96:97], v[64:65], v[78:79]
	v_add_f64 v[64:65], v[128:129], -v[138:139]
	v_add_f64 v[76:77], v[86:87], -v[108:109]
	v_fma_f64 v[168:169], v[96:97], v[72:73], v[68:69]
	v_fma_f64 v[96:97], v[96:97], v[74:75], -v[80:81]
	v_add_f64 v[72:73], v[142:143], -v[108:109]
	v_fma_f64 v[68:69], v[70:71], -0.5, v[58:59]
	v_add_f64 v[70:71], v[128:129], -v[84:85]
	v_add_f64 v[74:75], v[130:131], -v[142:143]
	v_fma_f64 v[56:57], v[82:83], -0.5, v[56:57]
	v_add_f64 v[80:81], v[138:139], -v[150:151]
	v_fma_f64 v[78:79], v[102:103], s[2:3], v[100:101]
	v_fma_f64 v[82:83], v[102:103], s[4:5], v[100:101]
	v_fma_f64 v[58:59], v[110:111], -0.5, v[58:59]
	v_add_f64 v[100:101], v[138:139], -v[128:129]
	v_add_f64 v[128:129], v[150:151], -v[84:85]
	;; [unrolled: 1-line block ×3, first 2 shown]
	v_add_f64 v[60:61], v[60:61], v[138:139]
	v_add_f64 v[138:139], v[114:115], -v[90:91]
	v_add_f64 v[62:63], v[62:63], v[142:143]
	v_add_f64 v[64:65], v[64:65], v[66:67]
	v_fma_f64 v[66:67], v[70:71], s[4:5], v[68:69]
	v_fma_f64 v[68:69], v[70:71], s[2:3], v[68:69]
	v_add_f64 v[74:75], v[74:75], v[76:77]
	v_add_f64 v[76:77], v[148:149], v[92:93]
	v_fma_f64 v[78:79], v[72:73], s[12:13], v[78:79]
	v_fma_f64 v[82:83], v[72:73], s[14:15], v[82:83]
	;; [unrolled: 1-line block ×5, first 2 shown]
	v_add_f64 v[60:61], v[60:61], v[150:151]
	v_add_f64 v[62:63], v[62:63], v[108:109]
	v_add_f64 v[108:109], v[108:109], -v[86:87]
	v_fma_f64 v[66:67], v[80:81], s[14:15], v[66:67]
	v_fma_f64 v[68:69], v[80:81], s[12:13], v[68:69]
	;; [unrolled: 1-line block ×3, first 2 shown]
	s_waitcnt lgkmcnt(0)
	v_fma_f64 v[76:77], v[76:77], -0.5, v[52:53]
	v_fma_f64 v[72:73], v[102:103], s[14:15], v[72:73]
	v_add_f64 v[56:57], v[60:61], v[84:85]
	v_fma_f64 v[60:61], v[64:65], s[16:17], v[78:79]
	v_add_f64 v[58:59], v[62:63], v[86:87]
	v_add_f64 v[78:79], v[112:113], v[88:89]
	v_fma_f64 v[64:65], v[64:65], s[16:17], v[82:83]
	v_add_f64 v[82:83], v[52:53], v[112:113]
	;; [unrolled: 3-line block ×3, first 2 shown]
	v_add_f64 v[108:109], v[112:113], -v[148:149]
	v_fma_f64 v[110:111], v[70:71], s[14:15], v[142:143]
	v_add_f64 v[128:129], v[88:89], -v[92:93]
	v_fma_f64 v[62:63], v[74:75], s[16:17], v[66:67]
	v_fma_f64 v[66:67], v[74:75], s[16:17], v[68:69]
	v_add_f64 v[68:69], v[152:153], v[94:95]
	v_add_f64 v[74:75], v[114:115], v[90:91]
	v_fma_f64 v[100:101], v[138:139], s[2:3], v[76:77]
	v_fma_f64 v[80:81], v[70:71], s[12:13], v[80:81]
	v_add_f64 v[130:131], v[152:153], -v[94:95]
	v_add_f64 v[70:71], v[54:55], v[114:115]
	v_fma_f64 v[76:77], v[138:139], s[4:5], v[76:77]
	v_add_f64 v[142:143], v[112:113], -v[88:89]
	v_fma_f64 v[52:53], v[78:79], -0.5, v[52:53]
	v_add_f64 v[78:79], v[82:83], v[148:149]
	v_fma_f64 v[72:73], v[84:85], s[16:17], v[72:73]
	v_add_f64 v[108:109], v[108:109], v[128:129]
	v_add_f64 v[128:129], v[148:149], -v[92:93]
	v_fma_f64 v[82:83], v[68:69], -0.5, v[54:55]
	v_fma_f64 v[54:55], v[74:75], -0.5, v[54:55]
	v_add_f64 v[74:75], v[148:149], -v[112:113]
	v_add_f64 v[112:113], v[92:93], -v[88:89]
	v_fma_f64 v[68:69], v[84:85], s[16:17], v[86:87]
	v_fma_f64 v[86:87], v[130:131], s[12:13], v[100:101]
	v_add_f64 v[100:101], v[70:71], v[152:153]
	v_fma_f64 v[148:149], v[130:131], s[14:15], v[76:77]
	v_fma_f64 v[70:71], v[102:103], s[16:17], v[110:111]
	;; [unrolled: 1-line block ×4, first 2 shown]
	v_add_f64 v[92:93], v[78:79], v[92:93]
	v_add_f64 v[52:53], v[114:115], -v[152:153]
	v_add_f64 v[78:79], v[152:153], -v[114:115]
	;; [unrolled: 1-line block ×3, first 2 shown]
	v_add_f64 v[152:153], v[156:157], v[120:121]
	v_fma_f64 v[130:131], v[142:143], s[4:5], v[82:83]
	v_fma_f64 v[82:83], v[142:143], s[2:3], v[82:83]
	;; [unrolled: 1-line block ×3, first 2 shown]
	v_add_f64 v[112:113], v[74:75], v[112:113]
	v_add_f64 v[74:75], v[94:95], -v[90:91]
	v_fma_f64 v[84:85], v[108:109], s[16:17], v[86:87]
	v_add_f64 v[94:95], v[100:101], v[94:95]
	v_fma_f64 v[100:101], v[128:129], s[2:3], v[54:55]
	v_fma_f64 v[172:173], v[138:139], s[12:13], v[76:77]
	v_add_f64 v[114:115], v[52:53], v[114:115]
	ds_read_b128 v[52:55], v180 offset:1792
	v_fma_f64 v[130:131], v[128:129], s[14:15], v[130:131]
	v_fma_f64 v[128:129], v[128:129], s[12:13], v[82:83]
	v_add_f64 v[170:171], v[78:79], v[74:75]
	ds_read_b128 v[76:79], v180 offset:2688
	v_fma_f64 v[74:75], v[102:103], s[16:17], v[80:81]
	v_fma_f64 v[100:101], v[142:143], s[14:15], v[100:101]
	;; [unrolled: 1-line block ×3, first 2 shown]
	v_add_f64 v[82:83], v[94:95], v[90:91]
	v_add_f64 v[110:111], v[116:117], v[124:125]
	v_fma_f64 v[138:139], v[142:143], s[12:13], v[150:151]
	v_add_f64 v[142:143], v[158:159], v[122:123]
	v_add_f64 v[80:81], v[92:93], v[88:89]
	v_fma_f64 v[88:89], v[108:109], s[16:17], v[148:149]
	s_waitcnt lgkmcnt(1)
	v_fma_f64 v[150:151], v[152:153], -0.5, v[52:53]
	v_fma_f64 v[92:93], v[112:113], s[16:17], v[172:173]
	v_add_f64 v[152:153], v[118:119], v[126:127]
	s_waitcnt lgkmcnt(0)
	s_barrier
	buffer_gl0_inv
	v_fma_f64 v[86:87], v[114:115], s[16:17], v[130:131]
	v_fma_f64 v[90:91], v[114:115], s[16:17], v[128:129]
	v_add_f64 v[114:115], v[52:53], v[116:117]
	v_add_f64 v[128:129], v[54:55], v[118:119]
	v_fma_f64 v[94:95], v[170:171], s[16:17], v[100:101]
	v_add_f64 v[100:101], v[118:119], -v[126:127]
	v_fma_f64 v[108:109], v[112:113], s[16:17], v[102:103]
	v_add_f64 v[102:103], v[116:117], -v[156:157]
	v_add_f64 v[112:113], v[124:125], -v[120:121]
	v_fma_f64 v[52:53], v[110:111], -0.5, v[52:53]
	v_fma_f64 v[130:131], v[142:143], -0.5, v[54:55]
	v_fma_f64 v[110:111], v[170:171], s[16:17], v[138:139]
	v_add_f64 v[138:139], v[158:159], -v[122:123]
	v_add_f64 v[170:171], v[134:135], v[144:145]
	v_fma_f64 v[54:55], v[152:153], -0.5, v[54:55]
	v_add_f64 v[152:153], v[156:157], -v[120:121]
	v_add_f64 v[114:115], v[114:115], v[156:157]
	v_add_f64 v[128:129], v[128:129], v[158:159]
	v_fma_f64 v[142:143], v[100:101], s[2:3], v[150:151]
	v_fma_f64 v[148:149], v[100:101], s[4:5], v[150:151]
	v_add_f64 v[150:151], v[116:117], -v[124:125]
	v_add_f64 v[102:103], v[102:103], v[112:113]
	v_add_f64 v[116:117], v[156:157], -v[116:117]
	v_add_f64 v[112:113], v[114:115], v[120:121]
	v_add_f64 v[114:115], v[128:129], v[122:123]
	v_fma_f64 v[128:129], v[138:139], s[4:5], v[52:53]
	v_fma_f64 v[52:53], v[138:139], s[2:3], v[52:53]
	v_add_f64 v[120:121], v[120:121], -v[124:125]
	v_fma_f64 v[142:143], v[138:139], s[12:13], v[142:143]
	v_fma_f64 v[138:139], v[138:139], s[14:15], v[148:149]
	v_add_f64 v[148:149], v[118:119], -v[158:159]
	v_add_f64 v[118:119], v[158:159], -v[118:119]
	v_add_f64 v[112:113], v[112:113], v[124:125]
	v_add_f64 v[114:115], v[114:115], v[126:127]
	v_add_f64 v[124:125], v[126:127], -v[122:123]
	v_add_f64 v[122:123], v[122:123], -v[126:127]
	v_fma_f64 v[126:127], v[150:151], s[4:5], v[130:131]
	v_fma_f64 v[130:131], v[150:151], s[2:3], v[130:131]
	v_add_f64 v[156:157], v[116:117], v[120:121]
	v_fma_f64 v[128:129], v[100:101], s[12:13], v[128:129]
	v_fma_f64 v[52:53], v[100:101], s[14:15], v[52:53]
	;; [unrolled: 1-line block ×3, first 2 shown]
	v_add_f64 v[142:143], v[136:137], v[154:155]
	v_fma_f64 v[120:121], v[102:103], s[16:17], v[138:139]
	v_add_f64 v[102:103], v[76:77], v[134:135]
	v_add_f64 v[100:101], v[132:133], v[164:165]
	;; [unrolled: 1-line block ×3, first 2 shown]
	v_fma_f64 v[148:149], v[152:153], s[2:3], v[54:55]
	v_fma_f64 v[54:55], v[152:153], s[4:5], v[54:55]
	;; [unrolled: 1-line block ×4, first 2 shown]
	v_add_f64 v[152:153], v[160:161], v[146:147]
	v_add_f64 v[158:159], v[118:119], v[122:123]
	v_fma_f64 v[138:139], v[142:143], -0.5, v[78:79]
	v_add_f64 v[102:103], v[102:103], v[160:161]
	v_fma_f64 v[100:101], v[100:101], -0.5, v[78:79]
	v_add_f64 v[78:79], v[78:79], v[136:137]
	v_fma_f64 v[148:149], v[150:151], s[14:15], v[148:149]
	v_fma_f64 v[54:55], v[150:151], s[12:13], v[54:55]
	;; [unrolled: 1-line block ×4, first 2 shown]
	v_fma_f64 v[150:151], v[152:153], -0.5, v[76:77]
	v_add_f64 v[152:153], v[136:137], -v[154:155]
	v_fma_f64 v[124:125], v[156:157], s[16:17], v[128:129]
	v_fma_f64 v[76:77], v[170:171], -0.5, v[76:77]
	v_fma_f64 v[128:129], v[156:157], s[16:17], v[52:53]
	v_add_f64 v[52:53], v[134:135], -v[160:161]
	v_add_f64 v[102:103], v[102:103], v[146:147]
	v_add_f64 v[156:157], v[160:161], -v[146:147]
	v_add_f64 v[78:79], v[78:79], v[132:133]
	v_fma_f64 v[126:127], v[158:159], s[16:17], v[148:149]
	v_fma_f64 v[130:131], v[158:159], s[16:17], v[54:55]
	v_add_f64 v[54:55], v[144:145], -v[146:147]
	v_add_f64 v[148:149], v[132:133], -v[164:165]
	;; [unrolled: 1-line block ×3, first 2 shown]
	v_fma_f64 v[142:143], v[152:153], s[2:3], v[150:151]
	v_fma_f64 v[150:151], v[152:153], s[4:5], v[150:151]
	v_add_f64 v[158:159], v[164:165], -v[154:155]
	v_add_f64 v[78:79], v[78:79], v[164:165]
	v_add_f64 v[52:53], v[52:53], v[54:55]
	v_fma_f64 v[54:55], v[148:149], s[12:13], v[142:143]
	v_fma_f64 v[142:143], v[148:149], s[14:15], v[150:151]
	;; [unrolled: 1-line block ×4, first 2 shown]
	v_add_f64 v[148:149], v[160:161], -v[134:135]
	v_add_f64 v[134:135], v[134:135], -v[144:145]
	v_add_f64 v[78:79], v[78:79], v[154:155]
	v_fma_f64 v[150:151], v[152:153], s[12:13], v[150:151]
	v_fma_f64 v[152:153], v[152:153], s[14:15], v[76:77]
	v_add_f64 v[146:147], v[148:149], v[146:147]
	v_add_f64 v[148:149], v[136:137], -v[132:133]
	v_add_f64 v[132:133], v[132:133], -v[136:137]
	;; [unrolled: 1-line block ×3, first 2 shown]
	v_fma_f64 v[76:77], v[134:135], s[4:5], v[100:101]
	v_fma_f64 v[100:101], v[134:135], s[2:3], v[100:101]
	v_add_f64 v[154:155], v[140:141], v[96:97]
	v_add_f64 v[158:159], v[132:133], v[158:159]
	;; [unrolled: 1-line block ×3, first 2 shown]
	v_fma_f64 v[136:137], v[156:157], s[2:3], v[138:139]
	v_fma_f64 v[138:139], v[156:157], s[4:5], v[138:139]
	;; [unrolled: 1-line block ×4, first 2 shown]
	v_add_f64 v[156:157], v[162:163], v[166:167]
	v_add_f64 v[76:77], v[102:103], v[144:145]
	;; [unrolled: 1-line block ×4, first 2 shown]
	v_fma_f64 v[132:133], v[52:53], s[16:17], v[54:55]
	v_add_f64 v[54:55], v[6:7], v[140:141]
	v_fma_f64 v[164:165], v[134:135], s[14:15], v[136:137]
	v_fma_f64 v[170:171], v[134:135], s[12:13], v[138:139]
	;; [unrolled: 1-line block ×5, first 2 shown]
	v_fma_f64 v[52:53], v[156:157], -0.5, v[4:5]
	v_add_f64 v[100:101], v[106:107], -v[162:163]
	v_add_f64 v[142:143], v[168:169], -v[166:167]
	v_fma_f64 v[102:103], v[102:103], -0.5, v[4:5]
	v_add_f64 v[4:5], v[4:5], v[106:107]
	v_add_f64 v[148:149], v[140:141], -v[96:97]
	v_fma_f64 v[144:145], v[144:145], -0.5, v[6:7]
	v_fma_f64 v[6:7], v[154:155], -0.5, v[6:7]
	v_add_f64 v[54:55], v[54:55], v[104:105]
	v_add_f64 v[160:161], v[162:163], -v[166:167]
	v_add_f64 v[100:101], v[100:101], v[142:143]
	v_add_f64 v[142:143], v[140:141], -v[104:105]
	v_add_f64 v[140:141], v[104:105], -v[140:141]
	;; [unrolled: 1-line block ×3, first 2 shown]
	v_fma_f64 v[154:155], v[148:149], s[2:3], v[52:53]
	v_fma_f64 v[52:53], v[148:149], s[4:5], v[52:53]
	v_add_f64 v[4:5], v[4:5], v[162:163]
	v_add_f64 v[54:55], v[54:55], v[98:99]
	v_fma_f64 v[156:157], v[104:105], s[4:5], v[102:103]
	v_fma_f64 v[102:103], v[104:105], s[2:3], v[102:103]
	;; [unrolled: 1-line block ×4, first 2 shown]
	v_add_f64 v[52:53], v[4:5], v[166:167]
	v_add_f64 v[4:5], v[162:163], -v[106:107]
	v_add_f64 v[162:163], v[166:167], -v[168:169]
	v_fma_f64 v[156:157], v[148:149], s[12:13], v[156:157]
	v_fma_f64 v[102:103], v[148:149], s[14:15], v[102:103]
	;; [unrolled: 1-line block ×3, first 2 shown]
	v_add_f64 v[162:163], v[4:5], v[162:163]
	v_add_f64 v[4:5], v[96:97], -v[98:99]
	v_add_f64 v[98:99], v[98:99], -v[96:97]
	v_add_f64 v[148:149], v[142:143], v[4:5]
	v_add_f64 v[4:5], v[106:107], -v[168:169]
	v_add_f64 v[166:167], v[140:141], v[98:99]
	v_fma_f64 v[140:141], v[146:147], s[16:17], v[152:153]
	v_fma_f64 v[106:107], v[4:5], s[4:5], v[144:145]
	;; [unrolled: 1-line block ×10, first 2 shown]
	v_add_f64 v[146:147], v[54:55], v[96:97]
	v_fma_f64 v[6:7], v[158:159], s[16:17], v[164:165]
	v_fma_f64 v[142:143], v[158:159], s[16:17], v[170:171]
	v_add_f64 v[144:145], v[52:53], v[168:169]
	v_fma_f64 v[52:53], v[100:101], s[16:17], v[154:155]
	v_fma_f64 v[96:97], v[162:163], s[16:17], v[156:157]
	;; [unrolled: 1-line block ×5, first 2 shown]
	buffer_load_dword v148, off, s[36:39], 0 offset:592 ; 4-byte Folded Reload
	v_fma_f64 v[98:99], v[166:167], s[16:17], v[98:99]
	v_fma_f64 v[102:103], v[166:167], s[16:17], v[172:173]
	s_waitcnt vmcnt(0)
	ds_write_b128 v148, v[56:59]
	ds_write_b128 v148, v[60:63] offset:128
	ds_write_b128 v148, v[68:71] offset:256
	ds_write_b128 v148, v[72:75] offset:384
	ds_write_b128 v148, v[64:67] offset:512
	buffer_load_dword v56, off, s[36:39], 0 offset:616 ; 4-byte Folded Reload
	s_waitcnt vmcnt(0)
	ds_write_b128 v56, v[80:83]
	ds_write_b128 v56, v[84:87] offset:128
	ds_write_b128 v56, v[92:95] offset:256
	ds_write_b128 v56, v[108:111] offset:384
	ds_write_b128 v56, v[88:91] offset:512
	buffer_load_dword v56, off, s[36:39], 0 offset:612 ; 4-byte Folded Reload
	;; [unrolled: 7-line block ×4, first 2 shown]
	s_waitcnt vmcnt(0)
	ds_write_b128 v4, v[144:147]
	ds_write_b128 v4, v[52:55] offset:128
	ds_write_b128 v4, v[96:99] offset:256
	;; [unrolled: 1-line block ×4, first 2 shown]
	s_waitcnt lgkmcnt(0)
	s_barrier
	buffer_gl0_inv
	ds_read_b128 v[72:75], v180
	ds_read_b128 v[60:63], v180 offset:896
	ds_read_b128 v[128:131], v180 offset:6400
	;; [unrolled: 1-line block ×20, first 2 shown]
	s_and_saveexec_b32 s1, s0
	s_cbranch_execz .LBB0_35
; %bb.34:
	ds_read_b128 v[52:55], v180 offset:2688
	ds_read_b128 v[96:99], v180 offset:5888
	;; [unrolled: 1-line block ×6, first 2 shown]
	s_waitcnt lgkmcnt(0)
	buffer_store_dword v136, off, s[36:39], 0 offset:8 ; 4-byte Folded Spill
	buffer_store_dword v137, off, s[36:39], 0 offset:12 ; 4-byte Folded Spill
	;; [unrolled: 1-line block ×4, first 2 shown]
	ds_read_b128 v[136:139], v180 offset:21888
	s_waitcnt lgkmcnt(0)
	buffer_store_dword v136, off, s[36:39], 0 offset:24 ; 4-byte Folded Spill
	buffer_store_dword v137, off, s[36:39], 0 offset:28 ; 4-byte Folded Spill
	;; [unrolled: 1-line block ×4, first 2 shown]
.LBB0_35:
	s_or_b32 exec_lo, exec_lo, s1
	s_clause 0x3
	buffer_load_dword v148, off, s[36:39], 0 offset:620
	buffer_load_dword v149, off, s[36:39], 0 offset:624
	;; [unrolled: 1-line block ×4, first 2 shown]
	s_mov_b32 s4, 0x37e14327
	s_mov_b32 s12, 0xe976ee23
	;; [unrolled: 1-line block ×20, first 2 shown]
	s_waitcnt vmcnt(0) lgkmcnt(12)
	v_mul_f64 v[136:137], v[150:151], v[146:147]
	v_mul_f64 v[138:139], v[150:151], v[144:145]
	v_fma_f64 v[136:137], v[148:149], v[144:145], v[136:137]
	v_mul_f64 v[144:145], v[2:3], v[130:131]
	v_mul_f64 v[2:3], v[2:3], v[128:129]
	v_fma_f64 v[138:139], v[148:149], v[146:147], -v[138:139]
	v_fma_f64 v[144:145], v[0:1], v[128:129], v[144:145]
	v_fma_f64 v[0:1], v[0:1], v[130:131], -v[2:3]
	s_clause 0x3
	buffer_load_dword v128, off, s[36:39], 0 offset:784
	buffer_load_dword v129, off, s[36:39], 0 offset:788
	;; [unrolled: 1-line block ×4, first 2 shown]
	v_mul_f64 v[2:3], v[14:15], v[134:135]
	v_mul_f64 v[14:15], v[14:15], v[132:133]
	v_fma_f64 v[2:3], v[12:13], v[132:133], v[2:3]
	v_fma_f64 v[12:13], v[12:13], v[134:135], -v[14:15]
	s_waitcnt lgkmcnt(4)
	v_mul_f64 v[14:15], v[10:11], v[142:143]
	v_mul_f64 v[10:11], v[10:11], v[140:141]
	v_fma_f64 v[14:15], v[8:9], v[140:141], v[14:15]
	v_fma_f64 v[8:9], v[8:9], v[142:143], -v[10:11]
	v_mul_f64 v[10:11], v[234:235], v[126:127]
	v_fma_f64 v[10:11], v[232:233], v[124:125], v[10:11]
	v_mul_f64 v[124:125], v[234:235], v[124:125]
	v_fma_f64 v[124:125], v[232:233], v[126:127], -v[124:125]
	v_mul_f64 v[126:127], v[238:239], v[122:123]
	v_fma_f64 v[126:127], v[236:237], v[120:121], v[126:127]
	v_mul_f64 v[120:121], v[238:239], v[120:121]
	v_fma_f64 v[120:121], v[236:237], v[122:123], -v[120:121]
	s_waitcnt vmcnt(0)
	v_mul_f64 v[122:123], v[130:131], v[6:7]
	v_fma_f64 v[122:123], v[128:129], v[4:5], v[122:123]
	v_mul_f64 v[4:5], v[130:131], v[4:5]
	s_clause 0x3
	buffer_load_dword v130, off, s[36:39], 0 offset:800
	buffer_load_dword v131, off, s[36:39], 0 offset:804
	;; [unrolled: 1-line block ×4, first 2 shown]
	v_fma_f64 v[4:5], v[128:129], v[6:7], -v[4:5]
	s_waitcnt vmcnt(0)
	v_mul_f64 v[6:7], v[132:133], v[254:255]
	v_mul_f64 v[128:129], v[132:133], v[252:253]
	s_clause 0xb
	buffer_load_dword v132, off, s[36:39], 0 offset:768
	buffer_load_dword v133, off, s[36:39], 0 offset:772
	;; [unrolled: 1-line block ×12, first 2 shown]
	v_fma_f64 v[6:7], v[130:131], v[252:253], v[6:7]
	v_fma_f64 v[128:129], v[130:131], v[254:255], -v[128:129]
	s_waitcnt vmcnt(8)
	v_mul_f64 v[130:131], v[134:135], v[94:95]
	v_fma_f64 v[130:131], v[132:133], v[92:93], v[130:131]
	v_mul_f64 v[92:93], v[134:135], v[92:93]
	v_fma_f64 v[92:93], v[132:133], v[94:95], -v[92:93]
	v_mul_f64 v[94:95], v[194:195], v[90:91]
	s_waitcnt vmcnt(4)
	v_mul_f64 v[132:133], v[142:143], v[116:117]
	v_fma_f64 v[94:95], v[192:193], v[88:89], v[94:95]
	v_mul_f64 v[88:89], v[194:195], v[88:89]
	v_fma_f64 v[88:89], v[192:193], v[90:91], -v[88:89]
	v_mul_f64 v[90:91], v[142:143], v[118:119]
	v_add_f64 v[142:143], v[144:145], v[14:15]
	v_add_f64 v[14:15], v[144:145], -v[14:15]
	v_fma_f64 v[90:91], v[140:141], v[116:117], v[90:91]
	v_fma_f64 v[116:117], v[140:141], v[118:119], -v[132:133]
	s_waitcnt vmcnt(0) lgkmcnt(2)
	v_mul_f64 v[118:119], v[148:149], v[86:87]
	v_mul_f64 v[132:133], v[148:149], v[84:85]
	s_clause 0x7
	buffer_load_dword v148, off, s[36:39], 0 offset:704
	buffer_load_dword v149, off, s[36:39], 0 offset:708
	;; [unrolled: 1-line block ×8, first 2 shown]
	v_fma_f64 v[84:85], v[146:147], v[84:85], v[118:119]
	v_fma_f64 v[86:87], v[146:147], v[86:87], -v[132:133]
	v_add_f64 v[118:119], v[136:137], v[2:3]
	v_add_f64 v[146:147], v[0:1], v[8:9]
	v_add_f64 v[0:1], v[0:1], -v[8:9]
	v_add_f64 v[8:9], v[10:11], v[126:127]
	v_add_f64 v[10:11], v[126:127], -v[10:11]
	v_add_f64 v[136:137], v[136:137], -v[2:3]
	v_add_f64 v[132:133], v[138:139], v[12:13]
	v_add_f64 v[126:127], v[120:121], -v[124:125]
	v_add_f64 v[12:13], v[138:139], -v[12:13]
	v_add_f64 v[2:3], v[124:125], v[120:121]
	v_add_f64 v[120:121], v[142:143], v[118:119]
	v_add_f64 v[158:159], v[8:9], -v[142:143]
	v_add_f64 v[124:125], v[146:147], v[132:133]
	s_waitcnt vmcnt(4)
	v_mul_f64 v[134:135], v[150:151], v[114:115]
	v_mul_f64 v[140:141], v[150:151], v[112:113]
	v_fma_f64 v[112:113], v[148:149], v[112:113], v[134:135]
	v_fma_f64 v[114:115], v[148:149], v[114:115], -v[140:141]
	s_waitcnt vmcnt(0)
	v_mul_f64 v[134:135], v[154:155], v[110:111]
	v_mul_f64 v[140:141], v[154:155], v[108:109]
	s_clause 0xb
	buffer_load_dword v154, off, s[36:39], 0 offset:688
	buffer_load_dword v155, off, s[36:39], 0 offset:692
	;; [unrolled: 1-line block ×12, first 2 shown]
	v_fma_f64 v[108:109], v[152:153], v[108:109], v[134:135]
	v_fma_f64 v[110:111], v[152:153], v[110:111], -v[140:141]
	v_add_f64 v[152:153], v[126:127], -v[0:1]
	v_mul_f64 v[152:153], v[152:153], s[12:13]
	s_waitcnt vmcnt(8) lgkmcnt(1)
	v_mul_f64 v[148:149], v[156:157], v[82:83]
	v_mul_f64 v[150:151], v[156:157], v[80:81]
	s_waitcnt vmcnt(4) lgkmcnt(0)
	v_mul_f64 v[138:139], v[162:163], v[78:79]
	v_mul_f64 v[144:145], v[162:163], v[76:77]
	;; [unrolled: 1-line block ×3, first 2 shown]
	v_add_f64 v[156:157], v[0:1], -v[12:13]
	s_waitcnt vmcnt(0)
	v_mul_f64 v[134:135], v[168:169], v[70:71]
	v_mul_f64 v[140:141], v[168:169], v[68:69]
	v_fma_f64 v[80:81], v[154:155], v[80:81], v[148:149]
	v_fma_f64 v[82:83], v[154:155], v[82:83], -v[150:151]
	v_add_f64 v[148:149], v[118:119], -v[8:9]
	v_add_f64 v[150:151], v[10:11], -v[14:15]
	;; [unrolled: 1-line block ×3, first 2 shown]
	v_add_f64 v[14:15], v[10:11], v[14:15]
	v_add_f64 v[10:11], v[136:137], -v[10:11]
	v_add_f64 v[118:119], v[142:143], -v[118:119]
	v_add_f64 v[8:9], v[8:9], v[120:121]
	v_add_f64 v[120:121], v[2:3], v[124:125]
	v_add_f64 v[124:125], v[2:3], -v[146:147]
	v_fma_f64 v[76:77], v[160:161], v[76:77], v[138:139]
	v_add_f64 v[138:139], v[132:133], -v[2:3]
	v_fma_f64 v[78:79], v[160:161], v[78:79], -v[144:145]
	v_add_f64 v[144:145], v[126:127], v[0:1]
	v_add_f64 v[126:127], v[12:13], -v[126:127]
	v_mul_f64 v[160:161], v[156:157], s[2:3]
	v_fma_f64 v[68:69], v[166:167], v[68:69], v[134:135]
	v_fma_f64 v[70:71], v[166:167], v[70:71], -v[140:141]
	v_mul_f64 v[142:143], v[148:149], s[4:5]
	v_mul_f64 v[148:149], v[150:151], s[12:13]
	v_mul_f64 v[150:151], v[154:155], s[2:3]
	v_add_f64 v[14:15], v[14:15], v[136:137]
	v_add_f64 v[0:1], v[72:73], v[8:9]
	;; [unrolled: 1-line block ×3, first 2 shown]
	v_add_f64 v[72:73], v[146:147], -v[132:133]
	v_mul_f64 v[74:75], v[124:125], s[16:17]
	v_mul_f64 v[132:133], v[138:139], s[4:5]
	v_add_f64 v[138:139], v[122:123], v[94:95]
	v_add_f64 v[12:13], v[144:145], v[12:13]
	;; [unrolled: 1-line block ×3, first 2 shown]
	v_add_f64 v[88:89], v[4:5], -v[88:89]
	v_fma_f64 v[158:159], v[158:159], s[16:17], v[142:143]
	v_fma_f64 v[136:137], v[10:11], s[22:23], v[148:149]
	v_fma_f64 v[10:11], v[10:11], s[24:25], -v[150:151]
	v_fma_f64 v[150:151], v[118:119], s[18:19], -v[162:163]
	s_clause 0x3
	buffer_load_dword v162, off, s[36:39], 0 offset:640
	buffer_load_dword v163, off, s[36:39], 0 offset:644
	;; [unrolled: 1-line block ×4, first 2 shown]
	v_fma_f64 v[144:145], v[154:155], s[2:3], -v[148:149]
	v_add_f64 v[154:155], v[6:7], v[84:85]
	v_fma_f64 v[148:149], v[156:157], s[2:3], -v[152:153]
	v_add_f64 v[156:157], v[128:129], v[86:87]
	v_fma_f64 v[8:9], v[8:9], s[14:15], v[0:1]
	v_fma_f64 v[120:121], v[120:121], s[14:15], v[2:3]
	v_fma_f64 v[74:75], v[72:73], s[18:19], -v[74:75]
	v_fma_f64 v[152:153], v[126:127], s[22:23], v[152:153]
	v_fma_f64 v[126:127], v[126:127], s[24:25], -v[160:161]
	;; [unrolled: 2-line block ×3, first 2 shown]
	v_fma_f64 v[72:73], v[72:73], s[20:21], -v[132:133]
	v_add_f64 v[142:143], v[130:131], v[90:91]
	v_add_f64 v[160:161], v[92:93], v[116:117]
	s_waitcnt vmcnt(0)
	s_waitcnt_vscnt null, 0x0
	s_barrier
	buffer_gl0_inv
	v_fma_f64 v[136:137], v[14:15], s[26:27], v[136:137]
	v_fma_f64 v[140:141], v[14:15], s[26:27], v[10:11]
	;; [unrolled: 1-line block ×3, first 2 shown]
	v_add_f64 v[14:15], v[154:155], v[138:139]
	v_fma_f64 v[148:149], v[12:13], s[26:27], v[148:149]
	v_add_f64 v[144:145], v[156:157], v[146:147]
	v_add_f64 v[150:151], v[150:151], v[8:9]
	;; [unrolled: 1-line block ×4, first 2 shown]
	v_fma_f64 v[152:153], v[12:13], s[26:27], v[152:153]
	v_fma_f64 v[126:127], v[12:13], s[26:27], v[126:127]
	v_add_f64 v[12:13], v[6:7], -v[84:85]
	v_add_f64 v[84:85], v[128:129], -v[86:87]
	;; [unrolled: 1-line block ×5, first 2 shown]
	v_add_f64 v[116:117], v[114:115], v[78:79]
	v_add_f64 v[130:131], v[110:111], v[82:83]
	;; [unrolled: 1-line block ×7, first 2 shown]
	v_add_f64 v[80:81], v[108:109], -v[80:81]
	v_add_f64 v[82:83], v[110:111], -v[82:83]
	v_add_f64 v[122:123], v[142:143], v[14:15]
	v_add_f64 v[76:77], v[112:113], -v[76:77]
	v_add_f64 v[128:129], v[160:161], v[144:145]
	;; [unrolled: 2-line block ×3, first 2 shown]
	v_add_f64 v[6:7], v[10:11], v[74:75]
	v_add_f64 v[10:11], v[74:75], -v[10:11]
	v_add_f64 v[74:75], v[154:155], -v[138:139]
	;; [unrolled: 1-line block ×4, first 2 shown]
	v_add_f64 v[148:149], v[90:91], v[84:85]
	v_add_f64 v[14:15], v[62:63], v[128:129]
	v_add_f64 v[62:63], v[92:93], -v[86:87]
	v_mul_f64 v[108:109], v[144:145], s[16:17]
	v_mul_f64 v[110:111], v[150:151], s[12:13]
	v_fma_f64 v[128:129], v[128:129], s[14:15], v[14:15]
	v_mul_f64 v[132:133], v[164:165], v[66:67]
	v_mul_f64 v[134:135], v[164:165], v[64:65]
	v_add_f64 v[164:165], v[120:121], v[94:95]
	v_fma_f64 v[64:65], v[162:163], v[64:65], v[132:133]
	v_fma_f64 v[66:67], v[162:163], v[66:67], -v[134:135]
	v_add_f64 v[132:133], v[156:157], -v[146:147]
	v_add_f64 v[134:135], v[138:139], -v[142:143]
	;; [unrolled: 1-line block ×4, first 2 shown]
	v_add_f64 v[146:147], v[86:87], v[12:13]
	v_add_f64 v[154:155], v[90:91], -v[84:85]
	v_add_f64 v[156:157], v[12:13], -v[92:93]
	v_add_f64 v[12:13], v[60:61], v[122:123]
	v_add_f64 v[60:61], v[130:131], v[116:117]
	v_add_f64 v[84:85], v[84:85], -v[88:89]
	v_add_f64 v[86:87], v[88:89], -v[90:91]
	v_add_f64 v[88:89], v[148:149], v[88:89]
	v_add_f64 v[160:161], v[68:69], v[64:65]
	;; [unrolled: 1-line block ×3, first 2 shown]
	v_add_f64 v[64:65], v[64:65], -v[68:69]
	v_add_f64 v[66:67], v[66:67], -v[70:71]
	;; [unrolled: 1-line block ×3, first 2 shown]
	v_mul_f64 v[70:71], v[134:135], s[4:5]
	v_mul_f64 v[78:79], v[142:143], s[16:17]
	;; [unrolled: 1-line block ×4, first 2 shown]
	v_add_f64 v[92:93], v[146:147], v[92:93]
	v_mul_f64 v[114:115], v[156:157], s[2:3]
	v_mul_f64 v[134:135], v[84:85], s[2:3]
	v_fma_f64 v[108:109], v[132:133], s[18:19], -v[108:109]
	v_fma_f64 v[156:157], v[156:157], s[2:3], -v[110:111]
	v_fma_f64 v[110:111], v[62:63], s[22:23], v[110:111]
	v_fma_f64 v[122:123], v[122:123], s[14:15], v[12:13]
	v_add_f64 v[138:139], v[94:95], -v[160:161]
	v_add_f64 v[150:151], v[162:163], v[60:61]
	v_add_f64 v[60:61], v[116:117], -v[162:163]
	v_add_f64 v[154:155], v[162:163], -v[130:131]
	;; [unrolled: 1-line block ×4, first 2 shown]
	v_add_f64 v[148:149], v[160:161], v[164:165]
	v_add_f64 v[160:161], v[66:67], -v[82:83]
	v_add_f64 v[164:165], v[82:83], -v[68:69]
	v_fma_f64 v[142:143], v[142:143], s[16:17], v[70:71]
	v_fma_f64 v[78:79], v[74:75], s[18:19], -v[78:79]
	v_fma_f64 v[70:71], v[74:75], s[20:21], -v[70:71]
	v_add_f64 v[74:75], v[80:81], -v[76:77]
	v_add_f64 v[80:81], v[64:65], v[80:81]
	v_fma_f64 v[144:145], v[144:145], s[16:17], v[90:91]
	v_fma_f64 v[90:91], v[132:133], s[20:21], -v[90:91]
	v_add_f64 v[94:95], v[120:121], -v[94:95]
	v_add_f64 v[116:117], v[130:131], -v[116:117]
	;; [unrolled: 1-line block ×4, first 2 shown]
	v_fma_f64 v[114:115], v[62:63], s[24:25], -v[114:115]
	v_fma_f64 v[84:85], v[84:85], s[2:3], -v[112:113]
	v_mul_f64 v[120:121], v[138:139], s[4:5]
	v_fma_f64 v[112:113], v[86:87], s[22:23], v[112:113]
	v_mul_f64 v[132:133], v[60:61], s[4:5]
	v_mul_f64 v[138:139], v[154:155], s[16:17]
	;; [unrolled: 1-line block ×4, first 2 shown]
	v_fma_f64 v[86:87], v[86:87], s[24:25], -v[134:135]
	v_mul_f64 v[160:161], v[160:161], s[12:13]
	v_mul_f64 v[170:171], v[164:165], s[2:3]
	v_add_f64 v[62:63], v[124:125], -v[136:137]
	v_add_f64 v[82:83], v[66:67], v[82:83]
	v_add_f64 v[56:57], v[56:57], v[148:149]
	v_mul_f64 v[172:173], v[74:75], s[2:3]
	v_add_f64 v[76:77], v[80:81], v[76:77]
	v_add_f64 v[58:59], v[58:59], v[150:151]
	v_add_f64 v[142:143], v[142:143], v[122:123]
	v_add_f64 v[144:145], v[144:145], v[128:129]
	v_fma_f64 v[110:111], v[92:93], s[26:27], v[110:111]
	v_add_f64 v[108:109], v[108:109], v[128:129]
	v_add_f64 v[128:129], v[90:91], v[128:129]
	v_fma_f64 v[114:115], v[92:93], s[26:27], v[114:115]
	v_fma_f64 v[90:91], v[92:93], s[26:27], v[156:157]
	;; [unrolled: 1-line block ×5, first 2 shown]
	v_fma_f64 v[138:139], v[116:117], s[18:19], -v[138:139]
	v_fma_f64 v[74:75], v[74:75], s[2:3], -v[162:163]
	;; [unrolled: 1-line block ×3, first 2 shown]
	v_add_f64 v[60:61], v[152:153], v[158:159]
	v_fma_f64 v[132:133], v[168:169], s[22:23], v[160:161]
	v_fma_f64 v[146:147], v[168:169], s[24:25], -v[170:171]
	v_fma_f64 v[154:155], v[164:165], s[2:3], -v[160:161]
	v_add_f64 v[68:69], v[82:83], v[68:69]
	v_fma_f64 v[82:83], v[94:95], s[18:19], -v[130:131]
	v_fma_f64 v[94:95], v[94:95], s[20:21], -v[120:121]
	v_fma_f64 v[120:121], v[148:149], s[14:15], v[56:57]
	v_fma_f64 v[130:131], v[150:151], s[14:15], v[58:59]
	;; [unrolled: 1-line block ×3, first 2 shown]
	v_fma_f64 v[150:151], v[166:167], s[24:25], -v[172:173]
	v_add_f64 v[160:161], v[78:79], v[122:123]
	v_add_f64 v[122:123], v[70:71], v[122:123]
	v_fma_f64 v[162:163], v[88:89], s[26:27], v[86:87]
	v_fma_f64 v[88:89], v[88:89], s[26:27], v[84:85]
	v_add_f64 v[64:65], v[126:127], v[118:119]
	v_add_f64 v[66:67], v[72:73], -v[140:141]
	v_add_f64 v[70:71], v[140:141], v[72:73]
	v_add_f64 v[72:73], v[158:159], -v[152:153]
	v_add_f64 v[78:79], v[144:145], -v[110:111]
	v_fma_f64 v[168:169], v[76:77], s[26:27], v[74:75]
	v_add_f64 v[74:75], v[136:137], v[124:125]
	buffer_load_dword v136, off, s[36:39], 0 offset:636 ; 4-byte Folded Reload
	v_add_f64 v[86:87], v[90:91], v[108:109]
	v_add_f64 v[90:91], v[108:109], -v[90:91]
	v_add_f64 v[108:109], v[142:143], -v[112:113]
	v_fma_f64 v[132:133], v[68:69], s[26:27], v[132:133]
	v_fma_f64 v[146:147], v[68:69], s[26:27], v[146:147]
	;; [unrolled: 1-line block ×3, first 2 shown]
	v_add_f64 v[68:69], v[118:119], -v[126:127]
	v_add_f64 v[156:157], v[80:81], v[120:121]
	v_fma_f64 v[148:149], v[76:77], s[26:27], v[148:149]
	v_fma_f64 v[150:151], v[76:77], s[26:27], v[150:151]
	v_add_f64 v[76:77], v[112:113], v[142:143]
	v_add_f64 v[164:165], v[82:83], v[120:121]
	;; [unrolled: 1-line block ×3, first 2 shown]
	v_add_f64 v[82:83], v[128:129], -v[114:115]
	v_add_f64 v[84:85], v[160:161], -v[88:89]
	v_add_f64 v[88:89], v[88:89], v[160:161]
	v_add_f64 v[166:167], v[94:95], v[120:121]
	v_add_f64 v[92:93], v[122:123], -v[162:163]
	v_add_f64 v[94:95], v[114:115], v[128:129]
	v_add_f64 v[110:111], v[110:111], v[144:145]
	;; [unrolled: 1-line block ×5, first 2 shown]
	s_waitcnt vmcnt(0)
	ds_write_b128 v136, v[0:3]
	ds_write_b128 v136, v[60:63] offset:640
	ds_write_b128 v136, v[64:67] offset:1280
	;; [unrolled: 1-line block ×6, first 2 shown]
	ds_write_b128 v189, v[12:15]
	ds_write_b128 v189, v[76:79] offset:640
	ds_write_b128 v189, v[80:83] offset:1280
	;; [unrolled: 1-line block ×6, first 2 shown]
	buffer_load_dword v0, off, s[36:39], 0 offset:816 ; 4-byte Folded Reload
	v_add_f64 v[112:113], v[132:133], v[156:157]
	v_add_f64 v[114:115], v[134:135], -v[148:149]
	v_add_f64 v[116:117], v[146:147], v[166:167]
	v_add_f64 v[118:119], v[130:131], -v[150:151]
	v_add_f64 v[120:121], v[164:165], -v[154:155]
	v_add_f64 v[122:123], v[168:169], v[138:139]
	v_add_f64 v[124:125], v[154:155], v[164:165]
	v_add_f64 v[126:127], v[138:139], -v[168:169]
	v_add_f64 v[128:129], v[166:167], -v[146:147]
	v_add_f64 v[130:131], v[150:151], v[130:131]
	v_add_f64 v[132:133], v[156:157], -v[132:133]
	v_add_f64 v[134:135], v[148:149], v[134:135]
	s_waitcnt vmcnt(0)
	ds_write_b128 v0, v[56:59]
	ds_write_b128 v0, v[112:115] offset:640
	ds_write_b128 v0, v[116:119] offset:1280
	;; [unrolled: 1-line block ×6, first 2 shown]
	s_and_saveexec_b32 s1, s0
	s_cbranch_execz .LBB0_37
; %bb.36:
	s_clause 0x1b
	buffer_load_dword v82, off, s[36:39], 0 offset:916
	buffer_load_dword v83, off, s[36:39], 0 offset:920
	;; [unrolled: 1-line block ×28, first 2 shown]
	s_waitcnt vmcnt(22)
	v_mul_f64 v[0:1], v[84:85], v[90:91]
	s_waitcnt vmcnt(16)
	v_mul_f64 v[2:3], v[66:67], v[96:97]
	;; [unrolled: 2-line block ×4, first 2 shown]
	v_mul_f64 v[12:13], v[70:71], v[102:103]
	s_clause 0x3
	buffer_load_dword v70, off, s[36:39], 0 offset:868
	buffer_load_dword v71, off, s[36:39], 0 offset:872
	;; [unrolled: 1-line block ×4, first 2 shown]
	v_mul_f64 v[8:9], v[66:67], v[98:99]
	v_mul_f64 v[10:11], v[84:85], v[92:93]
	;; [unrolled: 1-line block ×3, first 2 shown]
	s_waitcnt vmcnt(4)
	v_mul_f64 v[56:57], v[76:77], v[50:51]
	v_mul_f64 v[62:63], v[76:77], v[48:49]
	v_fma_f64 v[0:1], v[82:83], v[92:93], -v[0:1]
	v_fma_f64 v[2:3], v[64:65], v[98:99], -v[2:3]
	;; [unrolled: 1-line block ×4, first 2 shown]
	v_fma_f64 v[12:13], v[68:69], v[100:101], v[12:13]
	v_fma_f64 v[8:9], v[64:65], v[96:97], v[8:9]
	;; [unrolled: 1-line block ×5, first 2 shown]
	v_fma_f64 v[50:51], v[74:75], v[50:51], -v[62:63]
	v_add_f64 v[62:63], v[6:7], v[4:5]
	v_add_f64 v[4:5], v[6:7], -v[4:5]
	v_add_f64 v[6:7], v[2:3], -v[0:1]
	v_add_f64 v[64:65], v[8:9], v[10:11]
	v_add_f64 v[66:67], v[12:13], v[14:15]
	v_add_f64 v[12:13], v[12:13], -v[14:15]
	v_add_f64 v[8:9], v[8:9], -v[10:11]
	;; [unrolled: 1-line block ×3, first 2 shown]
	s_waitcnt vmcnt(0)
	v_mul_f64 v[58:59], v[72:73], v[106:107]
	v_mul_f64 v[60:61], v[72:73], v[104:105]
	v_fma_f64 v[56:57], v[70:71], v[104:105], v[58:59]
	v_fma_f64 v[58:59], v[70:71], v[106:107], -v[60:61]
	v_add_f64 v[60:61], v[2:3], v[0:1]
	v_add_f64 v[0:1], v[66:67], v[64:65]
	v_add_f64 v[70:71], v[12:13], -v[8:9]
	v_add_f64 v[68:69], v[48:49], -v[56:57]
	v_add_f64 v[14:15], v[58:59], v[50:51]
	v_add_f64 v[48:49], v[56:57], v[48:49]
	;; [unrolled: 1-line block ×3, first 2 shown]
	v_add_f64 v[50:51], v[50:51], -v[58:59]
	v_mul_f64 v[80:81], v[70:71], s[2:3]
	v_add_f64 v[2:3], v[68:69], -v[12:13]
	v_add_f64 v[56:57], v[60:61], -v[14:15]
	;; [unrolled: 1-line block ×3, first 2 shown]
	v_add_f64 v[10:11], v[14:15], v[10:11]
	v_add_f64 v[14:15], v[14:15], -v[62:63]
	v_add_f64 v[72:73], v[50:51], -v[4:5]
	v_add_f64 v[76:77], v[48:49], v[0:1]
	v_add_f64 v[48:49], v[48:49], -v[66:67]
	v_add_f64 v[78:79], v[8:9], -v[68:69]
	v_add_f64 v[12:13], v[68:69], v[12:13]
	v_add_f64 v[4:5], v[50:51], v[4:5]
	v_add_f64 v[50:51], v[6:7], -v[50:51]
	v_mul_f64 v[68:69], v[2:3], s[12:13]
	v_mul_f64 v[56:57], v[56:57], s[4:5]
	;; [unrolled: 1-line block ×3, first 2 shown]
	v_add_f64 v[2:3], v[54:55], v[10:11]
	v_add_f64 v[54:55], v[62:63], -v[60:61]
	v_mul_f64 v[60:61], v[14:15], s[16:17]
	v_mul_f64 v[62:63], v[72:73], s[12:13]
	;; [unrolled: 1-line block ×3, first 2 shown]
	v_add_f64 v[0:1], v[52:53], v[76:77]
	v_add_f64 v[52:53], v[66:67], -v[64:65]
	v_mul_f64 v[64:65], v[48:49], s[16:17]
	v_add_f64 v[8:9], v[12:13], v[8:9]
	v_add_f64 v[4:5], v[4:5], v[6:7]
	v_fma_f64 v[6:7], v[78:79], s[22:23], v[68:69]
	v_fma_f64 v[12:13], v[14:15], s[16:17], v[56:57]
	;; [unrolled: 1-line block ×3, first 2 shown]
	v_fma_f64 v[48:49], v[78:79], s[24:25], -v[80:81]
	v_fma_f64 v[66:67], v[70:71], s[2:3], -v[68:69]
	v_fma_f64 v[10:11], v[10:11], s[14:15], v[2:3]
	v_fma_f64 v[56:57], v[54:55], s[20:21], -v[56:57]
	v_fma_f64 v[54:55], v[54:55], s[18:19], -v[60:61]
	v_fma_f64 v[60:61], v[50:51], s[22:23], v[62:63]
	;; [unrolled: 3-line block ×4, first 2 shown]
	v_fma_f64 v[48:49], v[8:9], s[26:27], v[48:49]
	v_fma_f64 v[8:9], v[8:9], s[26:27], v[66:67]
	v_add_f64 v[12:13], v[12:13], v[10:11]
	v_add_f64 v[56:57], v[56:57], v[10:11]
	;; [unrolled: 1-line block ×3, first 2 shown]
	v_fma_f64 v[60:61], v[4:5], s[26:27], v[60:61]
	v_fma_f64 v[66:67], v[4:5], s[26:27], v[50:51]
	;; [unrolled: 1-line block ×3, first 2 shown]
	v_add_f64 v[62:63], v[14:15], v[68:69]
	v_add_f64 v[70:71], v[58:59], v[68:69]
	;; [unrolled: 1-line block ×5, first 2 shown]
	v_add_f64 v[14:15], v[54:55], -v[8:9]
	v_add_f64 v[50:51], v[8:9], v[54:55]
	v_add_f64 v[54:55], v[56:57], -v[48:49]
	v_add_f64 v[58:59], v[12:13], -v[64:65]
	v_add_f64 v[56:57], v[60:61], v[62:63]
	v_add_f64 v[52:53], v[66:67], v[70:71]
	v_add_f64 v[48:49], v[68:69], -v[4:5]
	v_add_f64 v[12:13], v[4:5], v[68:69]
	v_add_f64 v[4:5], v[62:63], -v[60:61]
	buffer_load_dword v61, off, s[36:39], 0 offset:832 ; 4-byte Folded Reload
	v_add_f64 v[8:9], v[70:71], -v[66:67]
	v_mov_b32_e32 v60, 4
	s_waitcnt vmcnt(0)
	v_lshlrev_b32_sdwa v60, v60, v61 dst_sel:DWORD dst_unused:UNUSED_PAD src0_sel:DWORD src1_sel:BYTE_0
	ds_write_b128 v60, v[0:3] offset:17920
	ds_write_b128 v60, v[56:59] offset:18560
	;; [unrolled: 1-line block ×7, first 2 shown]
.LBB0_37:
	s_or_b32 exec_lo, exec_lo, s1
	s_waitcnt lgkmcnt(0)
	s_barrier
	buffer_gl0_inv
	ds_read_b128 v[4:7], v180 offset:4480
	ds_read_b128 v[8:11], v180 offset:8960
	ds_read_b128 v[12:15], v180 offset:13440
	ds_read_b128 v[48:51], v180 offset:17920
	ds_read_b128 v[52:55], v180 offset:5376
	ds_read_b128 v[56:59], v180 offset:9856
	ds_read_b128 v[0:3], v180 offset:3584
	ds_read_b128 v[60:63], v180 offset:14336
	ds_read_b128 v[64:67], v180 offset:18816
	ds_read_b128 v[68:71], v180 offset:12544
	ds_read_b128 v[76:79], v180 offset:15232
	ds_read_b128 v[72:75], v180 offset:6272
	s_mov_b32 s0, 0x134454ff
	s_mov_b32 s1, 0xbfee6f0e
	;; [unrolled: 1-line block ×9, first 2 shown]
	s_waitcnt lgkmcnt(11)
	v_mul_f64 v[80:81], v[210:211], v[6:7]
	v_mul_f64 v[82:83], v[210:211], v[4:5]
	s_waitcnt lgkmcnt(10)
	v_mul_f64 v[84:85], v[206:207], v[10:11]
	s_waitcnt lgkmcnt(9)
	v_mul_f64 v[88:89], v[214:215], v[14:15]
	v_mul_f64 v[86:87], v[206:207], v[8:9]
	;; [unrolled: 1-line block ×3, first 2 shown]
	s_waitcnt lgkmcnt(8)
	v_mul_f64 v[92:93], v[202:203], v[50:51]
	v_mul_f64 v[94:95], v[202:203], v[48:49]
	s_waitcnt lgkmcnt(7)
	v_mul_f64 v[96:97], v[198:199], v[54:55]
	v_mul_f64 v[98:99], v[198:199], v[52:53]
	s_waitcnt lgkmcnt(6)
	v_mul_f64 v[100:101], v[246:247], v[58:59]
	v_mul_f64 v[106:107], v[246:247], v[56:57]
	s_waitcnt lgkmcnt(4)
	v_mul_f64 v[108:109], v[242:243], v[62:63]
	v_mul_f64 v[110:111], v[242:243], v[60:61]
	s_waitcnt lgkmcnt(3)
	v_mul_f64 v[112:113], v[250:251], v[66:67]
	v_mul_f64 v[114:115], v[250:251], v[64:65]
	s_waitcnt lgkmcnt(1)
	v_mul_f64 v[124:125], v[222:223], v[78:79]
	v_mul_f64 v[126:127], v[222:223], v[76:77]
	v_mul_f64 v[148:149], v[34:35], v[70:71]
	s_mov_b32 s5, 0x3fd3c6ef
	v_fma_f64 v[102:103], v[208:209], v[4:5], v[80:81]
	v_fma_f64 v[104:105], v[208:209], v[6:7], -v[82:83]
	ds_read_b128 v[4:7], v180 offset:10752
	v_fma_f64 v[84:85], v[204:205], v[8:9], v[84:85]
	v_fma_f64 v[88:89], v[212:213], v[12:13], v[88:89]
	v_fma_f64 v[86:87], v[204:205], v[10:11], -v[86:87]
	v_fma_f64 v[90:91], v[212:213], v[14:15], -v[90:91]
	ds_read_b128 v[80:83], v180
	ds_read_b128 v[8:11], v180 offset:19712
	ds_read_b128 v[12:15], v180 offset:7168
	s_waitcnt lgkmcnt(4)
	v_mul_f64 v[116:117], v[230:231], v[74:75]
	v_fma_f64 v[92:93], v[200:201], v[48:49], v[92:93]
	v_fma_f64 v[94:95], v[200:201], v[50:51], -v[94:95]
	ds_read_b128 v[48:51], v180 offset:11648
	v_mul_f64 v[118:119], v[230:231], v[72:73]
	v_fma_f64 v[96:97], v[196:197], v[52:53], v[96:97]
	v_fma_f64 v[98:99], v[196:197], v[54:55], -v[98:99]
	ds_read_b128 v[52:55], v180 offset:16128
	v_fma_f64 v[100:101], v[244:245], v[56:57], v[100:101]
	v_fma_f64 v[106:107], v[244:245], v[58:59], -v[106:107]
	ds_read_b128 v[56:59], v180 offset:20608
	v_fma_f64 v[108:109], v[240:241], v[60:61], v[108:109]
	v_fma_f64 v[110:111], v[240:241], v[62:63], -v[110:111]
	s_waitcnt lgkmcnt(6)
	v_mul_f64 v[120:121], v[226:227], v[6:7]
	v_mul_f64 v[122:123], v[226:227], v[4:5]
	v_fma_f64 v[112:113], v[248:249], v[64:65], v[112:113]
	v_fma_f64 v[114:115], v[248:249], v[66:67], -v[114:115]
	s_waitcnt lgkmcnt(5)
	v_add_f64 v[132:133], v[80:81], v[102:103]
	s_waitcnt lgkmcnt(4)
	v_mul_f64 v[128:129], v[218:219], v[10:11]
	s_waitcnt lgkmcnt(3)
	v_mul_f64 v[134:135], v[46:47], v[14:15]
	v_mul_f64 v[46:47], v[46:47], v[12:13]
	v_add_f64 v[136:137], v[84:85], v[88:89]
	ds_read_b128 v[60:63], v180 offset:896
	ds_read_b128 v[64:67], v180 offset:8064
	s_waitcnt lgkmcnt(4)
	v_mul_f64 v[138:139], v[42:43], v[50:51]
	v_mul_f64 v[42:43], v[42:43], v[48:49]
	v_fma_f64 v[124:125], v[220:221], v[76:77], v[124:125]
	v_fma_f64 v[116:117], v[228:229], v[72:73], v[116:117]
	s_waitcnt lgkmcnt(3)
	v_mul_f64 v[76:77], v[38:39], v[54:55]
	v_fma_f64 v[118:119], v[228:229], v[74:75], -v[118:119]
	v_mul_f64 v[130:131], v[218:219], v[8:9]
	ds_read_b128 v[72:75], v180 offset:21504
	v_fma_f64 v[126:127], v[220:221], v[78:79], -v[126:127]
	v_mul_f64 v[78:79], v[38:39], v[52:53]
	s_waitcnt lgkmcnt(3)
	v_mul_f64 v[140:141], v[18:19], v[58:59]
	v_mul_f64 v[142:143], v[18:19], v[56:57]
	v_fma_f64 v[120:121], v[224:225], v[4:5], v[120:121]
	v_fma_f64 v[122:123], v[224:225], v[6:7], -v[122:123]
	ds_read_b128 v[4:7], v180 offset:17024
	v_add_f64 v[150:151], v[102:103], v[92:93]
	v_add_f64 v[132:133], v[132:133], v[84:85]
	v_fma_f64 v[128:129], v[216:217], v[8:9], v[128:129]
	s_waitcnt lgkmcnt(2)
	v_mul_f64 v[144:145], v[30:31], v[66:67]
	v_mul_f64 v[146:147], v[30:31], v[64:65]
	v_fma_f64 v[30:31], v[44:45], v[12:13], v[134:135]
	v_fma_f64 v[8:9], v[44:45], v[14:15], -v[46:47]
	v_add_f64 v[134:135], v[104:105], -v[94:95]
	v_fma_f64 v[136:137], v[136:137], -0.5, v[80:81]
	v_mul_f64 v[14:15], v[34:35], v[68:69]
	v_fma_f64 v[38:39], v[40:41], v[48:49], v[138:139]
	v_fma_f64 v[18:19], v[40:41], v[50:51], -v[42:43]
	s_waitcnt lgkmcnt(1)
	v_mul_f64 v[50:51], v[22:23], v[74:75]
	v_mul_f64 v[138:139], v[22:23], v[72:73]
	v_add_f64 v[22:23], v[86:87], v[90:91]
	v_fma_f64 v[154:155], v[36:37], v[52:53], v[76:77]
	v_add_f64 v[52:53], v[104:105], v[94:95]
	v_fma_f64 v[130:131], v[216:217], v[10:11], -v[130:131]
	s_waitcnt lgkmcnt(0)
	v_mul_f64 v[152:153], v[26:27], v[6:7]
	v_mul_f64 v[48:49], v[26:27], v[4:5]
	v_fma_f64 v[26:27], v[36:37], v[54:55], -v[78:79]
	v_fma_f64 v[10:11], v[16:17], v[56:57], v[140:141]
	v_fma_f64 v[12:13], v[16:17], v[58:59], -v[142:143]
	v_add_f64 v[54:55], v[132:133], v[88:89]
	v_add_f64 v[56:57], v[86:87], -v[90:91]
	v_fma_f64 v[36:37], v[28:29], v[64:65], v[144:145]
	v_fma_f64 v[34:35], v[28:29], v[66:67], -v[146:147]
	v_fma_f64 v[64:65], v[150:151], -0.5, v[80:81]
	v_fma_f64 v[132:133], v[32:33], v[68:69], v[148:149]
	v_add_f64 v[66:67], v[102:103], -v[84:85]
	v_fma_f64 v[58:59], v[134:135], s[0:1], v[136:137]
	v_fma_f64 v[32:33], v[32:33], v[70:71], -v[14:15]
	v_add_f64 v[68:69], v[92:93], -v[88:89]
	v_add_f64 v[70:71], v[82:83], v[104:105]
	v_add_f64 v[76:77], v[102:103], -v[92:93]
	v_fma_f64 v[16:17], v[20:21], v[72:73], v[50:51]
	v_fma_f64 v[78:79], v[22:23], -0.5, v[82:83]
	v_fma_f64 v[14:15], v[20:21], v[74:75], -v[138:139]
	v_add_f64 v[20:21], v[100:101], v[108:109]
	v_fma_f64 v[50:51], v[134:135], s[12:13], v[136:137]
	v_fma_f64 v[28:29], v[24:25], v[4:5], v[152:153]
	v_fma_f64 v[22:23], v[24:25], v[6:7], -v[48:49]
	v_add_f64 v[6:7], v[84:85], -v[88:89]
	v_fma_f64 v[24:25], v[52:53], -0.5, v[82:83]
	v_add_f64 v[74:75], v[104:105], -v[86:87]
	v_add_f64 v[4:5], v[54:55], v[92:93]
	v_add_f64 v[54:55], v[84:85], -v[102:103]
	v_add_f64 v[80:81], v[94:95], -v[90:91]
	v_add_f64 v[84:85], v[86:87], -v[104:105]
	v_fma_f64 v[52:53], v[56:57], s[12:13], v[64:65]
	v_fma_f64 v[64:65], v[56:57], s[0:1], v[64:65]
	v_add_f64 v[102:103], v[106:107], v[110:111]
	v_fma_f64 v[48:49], v[56:57], s[2:3], v[58:59]
	v_add_f64 v[58:59], v[88:89], -v[92:93]
	v_add_f64 v[66:67], v[66:67], v[68:69]
	v_add_f64 v[68:69], v[70:71], v[86:87]
	;; [unrolled: 1-line block ×3, first 2 shown]
	v_add_f64 v[86:87], v[90:91], -v[94:95]
	v_fma_f64 v[72:73], v[76:77], s[12:13], v[78:79]
	v_fma_f64 v[78:79], v[76:77], s[0:1], v[78:79]
	v_add_f64 v[88:89], v[60:61], v[96:97]
	v_fma_f64 v[20:21], v[20:21], -0.5, v[60:61]
	v_add_f64 v[92:93], v[98:99], -v[114:115]
	v_fma_f64 v[50:51], v[56:57], s[14:15], v[50:51]
	v_add_f64 v[104:105], v[112:113], -v[108:109]
	v_fma_f64 v[82:83], v[6:7], s[0:1], v[24:25]
	v_fma_f64 v[24:25], v[6:7], s[12:13], v[24:25]
	v_add_f64 v[136:137], v[96:97], -v[112:113]
	ds_read_b128 v[40:43], v180 offset:1792
	ds_read_b128 v[44:47], v180 offset:2688
	v_add_f64 v[74:75], v[74:75], v[80:81]
	v_add_f64 v[80:81], v[98:99], v[114:115]
	v_fma_f64 v[56:57], v[134:135], s[2:3], v[52:53]
	v_add_f64 v[138:139], v[108:109], -v[112:113]
	v_fma_f64 v[102:103], v[102:103], -0.5, v[62:63]
	v_add_f64 v[140:141], v[12:13], -v[26:27]
	v_add_f64 v[54:55], v[54:55], v[58:59]
	v_fma_f64 v[58:59], v[134:135], s[14:15], v[64:65]
	v_add_f64 v[64:65], v[106:107], -v[110:111]
	v_fma_f64 v[70:71], v[70:71], -0.5, v[60:61]
	v_add_f64 v[68:69], v[68:69], v[90:91]
	v_fma_f64 v[72:73], v[6:7], s[14:15], v[72:73]
	v_fma_f64 v[78:79], v[6:7], s[2:3], v[78:79]
	v_add_f64 v[84:85], v[84:85], v[86:87]
	v_add_f64 v[86:87], v[88:89], v[100:101]
	v_fma_f64 v[88:89], v[92:93], s[0:1], v[20:21]
	v_add_f64 v[90:91], v[96:97], -v[100:101]
	v_fma_f64 v[20:21], v[92:93], s[12:13], v[20:21]
	v_fma_f64 v[82:83], v[76:77], s[14:15], v[82:83]
	v_add_f64 v[134:135], v[62:63], v[98:99]
	v_fma_f64 v[48:49], v[66:67], s[4:5], v[48:49]
	v_fma_f64 v[52:53], v[66:67], s[4:5], v[50:51]
	v_add_f64 v[66:67], v[120:121], v[124:125]
	v_fma_f64 v[24:25], v[76:77], s[2:3], v[24:25]
	v_add_f64 v[96:97], v[100:101], -v[96:97]
	v_add_f64 v[100:101], v[100:101], -v[108:109]
	v_fma_f64 v[80:81], v[80:81], -0.5, v[62:63]
	v_add_f64 v[142:143], v[34:35], -v[14:15]
	v_fma_f64 v[56:57], v[54:55], s[4:5], v[56:57]
	v_fma_f64 v[60:61], v[54:55], s[4:5], v[58:59]
	v_add_f64 v[148:149], v[34:35], -v[32:33]
	v_fma_f64 v[76:77], v[64:65], s[12:13], v[70:71]
	v_fma_f64 v[70:71], v[64:65], s[0:1], v[70:71]
	v_add_f64 v[6:7], v[68:69], v[94:95]
	v_add_f64 v[68:69], v[122:123], v[126:127]
	v_fma_f64 v[50:51], v[74:75], s[4:5], v[72:73]
	v_fma_f64 v[54:55], v[74:75], s[4:5], v[78:79]
	v_add_f64 v[72:73], v[86:87], v[108:109]
	v_fma_f64 v[74:75], v[64:65], s[2:3], v[88:89]
	v_add_f64 v[78:79], v[90:91], v[104:105]
	v_fma_f64 v[58:59], v[84:85], s[4:5], v[82:83]
	v_fma_f64 v[20:21], v[64:65], s[14:15], v[20:21]
	v_add_f64 v[82:83], v[134:135], v[106:107]
	v_fma_f64 v[86:87], v[136:137], s[12:13], v[102:103]
	v_add_f64 v[88:89], v[98:99], -v[106:107]
	v_add_f64 v[90:91], v[114:115], -v[110:111]
	v_fma_f64 v[94:95], v[136:137], s[0:1], v[102:103]
	s_waitcnt lgkmcnt(1)
	v_add_f64 v[102:103], v[40:41], v[116:117]
	v_fma_f64 v[66:67], v[66:67], -0.5, v[40:41]
	v_add_f64 v[104:105], v[118:119], -v[130:131]
	v_fma_f64 v[62:63], v[84:85], s[4:5], v[24:25]
	v_add_f64 v[84:85], v[96:97], v[138:139]
	v_add_f64 v[96:97], v[116:117], v[128:129]
	v_fma_f64 v[24:25], v[92:93], s[2:3], v[76:77]
	v_fma_f64 v[70:71], v[92:93], s[14:15], v[70:71]
	;; [unrolled: 1-line block ×3, first 2 shown]
	v_add_f64 v[98:99], v[106:107], -v[98:99]
	v_add_f64 v[106:107], v[110:111], -v[114:115]
	v_add_f64 v[108:109], v[42:43], v[118:119]
	v_fma_f64 v[134:135], v[68:69], -0.5, v[42:43]
	v_add_f64 v[138:139], v[116:117], -v[128:129]
	v_add_f64 v[64:65], v[72:73], v[112:113]
	v_fma_f64 v[68:69], v[78:79], s[4:5], v[74:75]
	v_fma_f64 v[72:73], v[78:79], s[4:5], v[20:21]
	v_add_f64 v[20:21], v[82:83], v[110:111]
	v_add_f64 v[74:75], v[118:119], v[130:131]
	v_fma_f64 v[78:79], v[100:101], s[14:15], v[86:87]
	v_add_f64 v[82:83], v[88:89], v[90:91]
	v_fma_f64 v[86:87], v[100:101], s[2:3], v[94:95]
	v_fma_f64 v[80:81], v[100:101], s[12:13], v[80:81]
	v_add_f64 v[88:89], v[102:103], v[120:121]
	v_fma_f64 v[90:91], v[104:105], s[0:1], v[66:67]
	v_add_f64 v[94:95], v[122:123], -v[126:127]
	v_add_f64 v[100:101], v[116:117], -v[120:121]
	v_add_f64 v[102:103], v[128:129], -v[124:125]
	v_fma_f64 v[110:111], v[104:105], s[12:13], v[66:67]
	v_fma_f64 v[76:77], v[84:85], s[4:5], v[24:25]
	v_fma_f64 v[24:25], v[96:97], -0.5, v[40:41]
	v_fma_f64 v[40:41], v[84:85], s[4:5], v[70:71]
	v_fma_f64 v[84:85], v[136:137], s[14:15], v[92:93]
	v_add_f64 v[92:93], v[98:99], v[106:107]
	v_add_f64 v[96:97], v[108:109], v[122:123]
	v_fma_f64 v[98:99], v[138:139], s[12:13], v[134:135]
	v_add_f64 v[106:107], v[120:121], -v[124:125]
	v_add_f64 v[108:109], v[118:119], -v[122:123]
	;; [unrolled: 1-line block ×3, first 2 shown]
	v_fma_f64 v[134:135], v[138:139], s[0:1], v[134:135]
	v_fma_f64 v[42:43], v[74:75], -0.5, v[42:43]
	v_add_f64 v[66:67], v[20:21], v[114:115]
	s_waitcnt lgkmcnt(0)
	v_add_f64 v[20:21], v[44:45], v[30:31]
	v_fma_f64 v[70:71], v[82:83], s[4:5], v[78:79]
	v_fma_f64 v[74:75], v[82:83], s[4:5], v[86:87]
	v_add_f64 v[82:83], v[38:39], v[154:155]
	v_fma_f64 v[80:81], v[136:137], s[2:3], v[80:81]
	v_add_f64 v[86:87], v[88:89], v[124:125]
	v_fma_f64 v[88:89], v[94:95], s[2:3], v[90:91]
	v_add_f64 v[90:91], v[100:101], v[102:103]
	v_add_f64 v[102:103], v[30:31], v[10:11]
	v_fma_f64 v[100:101], v[94:95], s[14:15], v[110:111]
	v_fma_f64 v[110:111], v[94:95], s[12:13], v[24:25]
	;; [unrolled: 1-line block ×3, first 2 shown]
	v_add_f64 v[114:115], v[120:121], -v[116:117]
	v_add_f64 v[116:117], v[124:125], -v[128:129]
	v_add_f64 v[94:95], v[96:97], v[126:127]
	v_add_f64 v[120:121], v[18:19], v[26:27]
	v_fma_f64 v[96:97], v[106:107], s[14:15], v[98:99]
	v_add_f64 v[118:119], v[122:123], -v[118:119]
	v_add_f64 v[98:99], v[108:109], v[112:113]
	v_fma_f64 v[108:109], v[106:107], s[2:3], v[134:135]
	v_fma_f64 v[112:113], v[106:107], s[0:1], v[42:43]
	v_add_f64 v[122:123], v[126:127], -v[130:131]
	v_fma_f64 v[106:107], v[106:107], s[12:13], v[42:43]
	v_add_f64 v[20:21], v[20:21], v[38:39]
	v_fma_f64 v[78:79], v[92:93], s[4:5], v[84:85]
	v_fma_f64 v[124:125], v[82:83], -0.5, v[44:45]
	v_add_f64 v[126:127], v[8:9], -v[12:13]
	v_fma_f64 v[42:43], v[92:93], s[4:5], v[80:81]
	v_add_f64 v[92:93], v[18:19], -v[26:27]
	v_add_f64 v[80:81], v[86:87], v[128:129]
	v_fma_f64 v[44:45], v[102:103], -0.5, v[44:45]
	v_fma_f64 v[84:85], v[90:91], s[4:5], v[88:89]
	v_fma_f64 v[88:89], v[90:91], s[4:5], v[100:101]
	;; [unrolled: 1-line block ×3, first 2 shown]
	v_add_f64 v[110:111], v[46:47], v[8:9]
	v_add_f64 v[102:103], v[114:115], v[116:117]
	v_add_f64 v[116:117], v[30:31], -v[10:11]
	v_fma_f64 v[114:115], v[120:121], -0.5, v[46:47]
	v_fma_f64 v[24:25], v[104:105], s[14:15], v[24:25]
	v_add_f64 v[82:83], v[94:95], v[130:131]
	v_fma_f64 v[86:87], v[98:99], s[4:5], v[96:97]
	v_add_f64 v[96:97], v[8:9], v[12:13]
	;; [unrolled: 2-line block ×4, first 2 shown]
	v_add_f64 v[20:21], v[132:133], v[28:29]
	v_add_f64 v[122:123], v[36:37], v[16:17]
	v_fma_f64 v[94:95], v[138:139], s[14:15], v[112:113]
	v_fma_f64 v[108:109], v[126:127], s[0:1], v[124:125]
	v_add_f64 v[112:113], v[30:31], -v[38:39]
	v_add_f64 v[118:119], v[10:11], -v[154:155]
	v_fma_f64 v[120:121], v[126:127], s[12:13], v[124:125]
	v_fma_f64 v[124:125], v[92:93], s[12:13], v[44:45]
	v_add_f64 v[130:131], v[32:33], v[22:23]
	v_add_f64 v[30:31], v[38:39], -v[30:31]
	v_add_f64 v[128:129], v[154:155], -v[10:11]
	v_add_f64 v[136:137], v[34:35], v[14:15]
	v_add_f64 v[110:111], v[110:111], v[18:19]
	v_add_f64 v[38:39], v[38:39], -v[154:155]
	v_add_f64 v[138:139], v[8:9], -v[18:19]
	;; [unrolled: 1-line block ×4, first 2 shown]
	v_fma_f64 v[46:47], v[96:97], -0.5, v[46:47]
	v_fma_f64 v[44:45], v[92:93], s[0:1], v[44:45]
	v_fma_f64 v[134:135], v[116:117], s[12:13], v[114:115]
	;; [unrolled: 1-line block ×3, first 2 shown]
	v_add_f64 v[96:97], v[0:1], v[36:37]
	v_fma_f64 v[20:21], v[20:21], -0.5, v[0:1]
	v_fma_f64 v[0:1], v[122:123], -0.5, v[0:1]
	v_add_f64 v[122:123], v[2:3], v[34:35]
	v_fma_f64 v[108:109], v[92:93], s[2:3], v[108:109]
	v_add_f64 v[150:151], v[14:15], -v[22:23]
	v_add_f64 v[112:113], v[112:113], v[118:119]
	v_add_f64 v[118:119], v[32:33], -v[22:23]
	v_fma_f64 v[92:93], v[92:93], s[14:15], v[120:121]
	v_fma_f64 v[120:121], v[126:127], s[2:3], v[124:125]
	v_fma_f64 v[124:125], v[130:131], -0.5, v[2:3]
	v_add_f64 v[130:131], v[36:37], -v[16:17]
	v_add_f64 v[128:129], v[30:31], v[128:129]
	v_add_f64 v[30:31], v[132:133], -v[28:29]
	v_fma_f64 v[2:3], v[136:137], -0.5, v[2:3]
	v_add_f64 v[110:111], v[110:111], v[26:27]
	v_add_f64 v[136:137], v[8:9], v[18:19]
	v_fma_f64 v[26:27], v[38:39], s[0:1], v[46:47]
	v_fma_f64 v[8:9], v[38:39], s[12:13], v[46:47]
	;; [unrolled: 1-line block ×5, first 2 shown]
	v_add_f64 v[38:39], v[96:97], v[132:133]
	v_add_f64 v[134:135], v[138:139], v[140:141]
	;; [unrolled: 1-line block ×3, first 2 shown]
	v_fma_f64 v[46:47], v[142:143], s[0:1], v[20:21]
	v_add_f64 v[96:97], v[36:37], -v[132:133]
	v_add_f64 v[138:139], v[16:17], -v[28:29]
	v_fma_f64 v[140:141], v[118:119], s[12:13], v[0:1]
	v_fma_f64 v[20:21], v[142:143], s[12:13], v[20:21]
	v_add_f64 v[36:37], v[132:133], -v[36:37]
	v_add_f64 v[132:133], v[28:29], -v[16:17]
	v_fma_f64 v[146:147], v[130:131], s[12:13], v[124:125]
	v_fma_f64 v[144:145], v[118:119], s[0:1], v[0:1]
	;; [unrolled: 1-line block ×4, first 2 shown]
	v_add_f64 v[32:33], v[32:33], -v[34:35]
	v_add_f64 v[34:35], v[22:23], -v[14:15]
	v_fma_f64 v[2:3], v[30:31], s[12:13], v[2:3]
	v_fma_f64 v[154:155], v[116:117], s[14:15], v[26:27]
	;; [unrolled: 1-line block ×5, first 2 shown]
	v_add_f64 v[8:9], v[106:107], v[10:11]
	v_add_f64 v[38:39], v[38:39], v[28:29]
	;; [unrolled: 1-line block ×4, first 2 shown]
	v_fma_f64 v[46:47], v[118:119], s[2:3], v[46:47]
	v_fma_f64 v[22:23], v[112:113], s[4:5], v[108:109]
	v_add_f64 v[96:97], v[96:97], v[138:139]
	v_fma_f64 v[102:103], v[142:143], s[2:3], v[140:141]
	v_add_f64 v[140:141], v[148:149], v[150:151]
	;; [unrolled: 2-line block ×3, first 2 shown]
	v_fma_f64 v[138:139], v[30:31], s[14:15], v[146:147]
	v_fma_f64 v[132:133], v[142:143], s[14:15], v[144:145]
	;; [unrolled: 1-line block ×5, first 2 shown]
	v_add_f64 v[144:145], v[32:33], v[34:35]
	v_fma_f64 v[130:131], v[130:131], s[2:3], v[2:3]
	v_fma_f64 v[2:3], v[98:99], s[4:5], v[94:95]
	;; [unrolled: 1-line block ×9, first 2 shown]
	v_add_f64 v[12:13], v[38:39], v[16:17]
	v_add_f64 v[14:15], v[122:123], v[14:15]
	v_fma_f64 v[44:45], v[96:97], s[4:5], v[46:47]
	s_mov_b32 s2, 0xe434a9b1
	s_mov_b32 s3, 0x3f4767dc
	v_fma_f64 v[92:93], v[96:97], s[4:5], v[100:101]
	v_fma_f64 v[96:97], v[118:119], s[4:5], v[102:103]
	;; [unrolled: 1-line block ×5, first 2 shown]
	s_mul_hi_u32 s1, s8, 0x2bc
	v_fma_f64 v[98:99], v[144:145], s[4:5], v[142:143]
	v_fma_f64 v[102:103], v[144:145], s[4:5], v[130:131]
	ds_write_b128 v180, v[4:7]
	ds_write_b128 v180, v[48:51] offset:4480
	ds_write_b128 v180, v[56:59] offset:8960
	;; [unrolled: 1-line block ×24, first 2 shown]
	s_waitcnt lgkmcnt(0)
	s_barrier
	buffer_gl0_inv
	ds_read_b128 v[0:3], v180
	ds_read_b128 v[4:7], v180 offset:896
	s_clause 0x3
	buffer_load_dword v24, off, s[36:39], 0 offset:420
	buffer_load_dword v25, off, s[36:39], 0 offset:424
	;; [unrolled: 1-line block ×4, first 2 shown]
	ds_read_b128 v[8:11], v180 offset:11200
	s_clause 0x2
	buffer_load_dword v14, off, s[36:39], 0 offset:48
	buffer_load_dword v15, off, s[36:39], 0 offset:52
	buffer_load_dword v31, off, s[36:39], 0
	s_waitcnt vmcnt(3) lgkmcnt(2)
	v_mul_f64 v[12:13], v[26:27], v[2:3]
	v_mul_f64 v[16:17], v[26:27], v[0:1]
	s_waitcnt vmcnt(2)
	v_mov_b32_e32 v28, v14
	s_waitcnt vmcnt(0)
	v_mad_u64_u32 v[22:23], null, s8, v31, 0
	v_mad_u64_u32 v[20:21], null, s10, v28, 0
	v_fma_f64 v[0:1], v[24:25], v[0:1], v[12:13]
	ds_read_b128 v[12:15], v180 offset:12096
	s_clause 0x3
	buffer_load_dword v37, off, s[36:39], 0 offset:436
	buffer_load_dword v38, off, s[36:39], 0 offset:440
	;; [unrolled: 1-line block ×4, first 2 shown]
	v_fma_f64 v[2:3], v[24:25], v[2:3], -v[16:17]
	s_clause 0x3
	buffer_load_dword v33, off, s[36:39], 0 offset:404
	buffer_load_dword v34, off, s[36:39], 0 offset:408
	;; [unrolled: 1-line block ×4, first 2 shown]
	v_mov_b32_e32 v16, v21
	v_mov_b32_e32 v17, v23
	v_mad_u64_u32 v[28:29], null, s11, v28, v[16:17]
	v_mov_b32_e32 v21, v28
	s_waitcnt vmcnt(4) lgkmcnt(1)
	v_mul_f64 v[18:19], v[39:40], v[10:11]
	v_mul_f64 v[24:25], v[39:40], v[8:9]
	s_waitcnt vmcnt(0)
	v_mul_f64 v[26:27], v[35:36], v[6:7]
	v_mul_f64 v[29:30], v[35:36], v[4:5]
	v_mad_u64_u32 v[31:32], null, s9, v31, v[17:18]
	v_mul_f64 v[16:17], v[0:1], s[2:3]
	v_fma_f64 v[8:9], v[37:38], v[8:9], v[18:19]
	v_mul_f64 v[18:19], v[2:3], s[2:3]
	v_lshlrev_b64 v[0:1], 4, v[20:21]
	v_fma_f64 v[10:11], v[37:38], v[10:11], -v[24:25]
	v_fma_f64 v[36:37], v[33:34], v[6:7], -v[29:30]
	v_mov_b32_e32 v23, v31
	v_fma_f64 v[31:32], v[33:34], v[4:5], v[26:27]
	v_add_co_u32 v0, s0, s6, v0
	v_lshlrev_b64 v[2:3], 4, v[22:23]
	ds_read_b128 v[20:23], v180 offset:1792
	s_clause 0x3
	buffer_load_dword v48, off, s[36:39], 0 offset:388
	buffer_load_dword v49, off, s[36:39], 0 offset:392
	;; [unrolled: 1-line block ×4, first 2 shown]
	v_add_co_ci_u32_e64 v1, s0, s7, v1, s0
	ds_read_b128 v[24:27], v180 offset:2688
	v_add_co_u32 v42, s0, v0, v2
	v_add_co_ci_u32_e64 v43, s0, v1, v3, s0
	ds_read_b128 v[2:5], v180 offset:12992
	s_mul_i32 s0, s9, 0x2bc
	v_mul_f64 v[6:7], v[8:9], s[2:3]
	s_add_i32 s1, s1, s0
	s_mul_i32 s0, s8, 0x2bc
	v_mul_f64 v[8:9], v[10:11], s[2:3]
	s_lshl_b64 s[4:5], s[0:1], 4
	s_mul_hi_u32 s0, s8, 0xfffffd7c
	v_mul_f64 v[28:29], v[31:32], s[2:3]
	v_mul_f64 v[30:31], v[36:37], s[2:3]
	s_mul_i32 s1, s9, 0xfffffd7c
	s_sub_i32 s0, s0, s8
	s_mul_i32 s6, s8, 0xfffffd7c
	s_add_i32 s7, s0, s1
	s_lshl_b64 s[6:7], s[6:7], 4
	s_waitcnt vmcnt(0) lgkmcnt(3)
	v_mul_f64 v[38:39], v[50:51], v[14:15]
	v_mul_f64 v[40:41], v[50:51], v[12:13]
	s_clause 0x3
	buffer_load_dword v50, off, s[36:39], 0 offset:324
	buffer_load_dword v51, off, s[36:39], 0 offset:328
	;; [unrolled: 1-line block ×4, first 2 shown]
	ds_read_b128 v[32:35], v180 offset:13888
	s_clause 0xb
	buffer_load_dword v64, off, s[36:39], 0 offset:372
	buffer_load_dword v65, off, s[36:39], 0 offset:376
	;; [unrolled: 1-line block ×12, first 2 shown]
	v_fma_f64 v[36:37], v[48:49], v[12:13], v[38:39]
	v_fma_f64 v[38:39], v[48:49], v[14:15], -v[40:41]
	v_add_co_u32 v14, s0, v42, s4
	v_add_co_ci_u32_e64 v15, s0, s5, v43, s0
	ds_read_b128 v[10:13], v180 offset:3584
	v_add_co_u32 v54, s0, v14, s6
	v_add_co_ci_u32_e64 v55, s0, s7, v15, s0
	global_store_dwordx4 v[42:43], v[16:19], off
	global_store_dwordx4 v[14:15], v[6:9], off
	ds_read_b128 v[6:9], v180 offset:14784
	global_store_dwordx4 v[54:55], v[28:31], off
	v_mul_f64 v[14:15], v[36:37], s[2:3]
	v_mul_f64 v[16:17], v[38:39], s[2:3]
	s_waitcnt vmcnt(12) lgkmcnt(5)
	v_mul_f64 v[44:45], v[52:53], v[22:23]
	v_mul_f64 v[46:47], v[52:53], v[20:21]
	s_waitcnt vmcnt(8) lgkmcnt(3)
	;; [unrolled: 3-line block ×3, first 2 shown]
	v_mul_f64 v[52:53], v[58:59], v[32:33]
	v_fma_f64 v[20:21], v[50:51], v[20:21], v[44:45]
	v_fma_f64 v[22:23], v[50:51], v[22:23], -v[46:47]
	v_fma_f64 v[28:29], v[64:65], v[2:3], v[40:41]
	v_fma_f64 v[30:31], v[64:65], v[4:5], -v[48:49]
	v_mul_f64 v[44:45], v[62:63], v[26:27]
	v_mul_f64 v[46:47], v[62:63], v[24:25]
	;; [unrolled: 1-line block ×3, first 2 shown]
	v_add_co_u32 v48, s0, v54, s4
	v_add_co_ci_u32_e64 v49, s0, s5, v55, s0
	v_mul_f64 v[2:3], v[20:21], s[2:3]
	ds_read_b128 v[18:21], v180 offset:4480
	s_clause 0x3
	buffer_load_dword v64, off, s[36:39], 0 offset:276
	buffer_load_dword v65, off, s[36:39], 0 offset:280
	;; [unrolled: 1-line block ×4, first 2 shown]
	v_mul_f64 v[4:5], v[22:23], s[2:3]
	v_fma_f64 v[36:37], v[60:61], v[24:25], v[44:45]
	v_fma_f64 v[42:43], v[60:61], v[26:27], -v[46:47]
	v_fma_f64 v[44:45], v[56:57], v[32:33], v[50:51]
	v_fma_f64 v[46:47], v[56:57], v[34:35], -v[52:53]
	ds_read_b128 v[22:25], v180 offset:15680
	v_mul_f64 v[26:27], v[28:29], s[2:3]
	v_mul_f64 v[28:29], v[30:31], s[2:3]
	v_add_co_u32 v56, s0, v48, s6
	v_add_co_ci_u32_e64 v57, s0, s7, v49, s0
	v_add_co_u32 v60, s0, v56, s4
	v_add_co_ci_u32_e64 v61, s0, s5, v57, s0
	;; [unrolled: 2-line block ×3, first 2 shown]
	v_mul_f64 v[34:35], v[36:37], s[2:3]
	v_mul_f64 v[36:37], v[42:43], s[2:3]
	;; [unrolled: 1-line block ×4, first 2 shown]
	v_add_co_u32 v78, s0, v62, s4
	v_add_co_ci_u32_e64 v79, s0, s5, v63, s0
	s_waitcnt vmcnt(0) lgkmcnt(3)
	v_mul_f64 v[50:51], v[66:67], v[12:13]
	v_mul_f64 v[52:53], v[66:67], v[10:11]
	s_clause 0x3
	buffer_load_dword v66, off, s[36:39], 0 offset:292
	buffer_load_dword v67, off, s[36:39], 0 offset:296
	;; [unrolled: 1-line block ×4, first 2 shown]
	ds_read_b128 v[30:33], v180 offset:5376
	ds_read_b128 v[38:41], v180 offset:16576
	s_clause 0x7
	buffer_load_dword v86, off, s[36:39], 0 offset:228
	buffer_load_dword v87, off, s[36:39], 0 offset:232
	buffer_load_dword v88, off, s[36:39], 0 offset:236
	buffer_load_dword v89, off, s[36:39], 0 offset:240
	buffer_load_dword v80, off, s[36:39], 0 offset:196
	buffer_load_dword v81, off, s[36:39], 0 offset:200
	buffer_load_dword v82, off, s[36:39], 0 offset:204
	buffer_load_dword v83, off, s[36:39], 0 offset:208
	v_fma_f64 v[46:47], v[64:65], v[10:11], v[50:51]
	v_fma_f64 v[50:51], v[64:65], v[12:13], -v[52:53]
	s_waitcnt vmcnt(8) lgkmcnt(4)
	v_mul_f64 v[54:55], v[68:69], v[8:9]
	v_mul_f64 v[58:59], v[68:69], v[6:7]
	s_waitcnt vmcnt(4) lgkmcnt(3)
	v_mul_f64 v[64:65], v[88:89], v[18:19]
	s_waitcnt vmcnt(0) lgkmcnt(2)
	v_mul_f64 v[68:69], v[82:83], v[22:23]
	v_fma_f64 v[52:53], v[66:67], v[6:7], v[54:55]
	v_fma_f64 v[58:59], v[66:67], v[8:9], -v[58:59]
	v_mul_f64 v[66:67], v[82:83], v[24:25]
	ds_read_b128 v[6:9], v180 offset:6272
	s_clause 0x3
	buffer_load_dword v82, off, s[36:39], 0 offset:212
	buffer_load_dword v83, off, s[36:39], 0 offset:216
	buffer_load_dword v84, off, s[36:39], 0 offset:220
	buffer_load_dword v85, off, s[36:39], 0 offset:224
	v_mul_f64 v[54:55], v[88:89], v[20:21]
	ds_read_b128 v[10:13], v180 offset:17472
	s_clause 0x3
	buffer_load_dword v88, off, s[36:39], 0 offset:308
	buffer_load_dword v89, off, s[36:39], 0 offset:312
	;; [unrolled: 1-line block ×4, first 2 shown]
	global_store_dwordx4 v[48:49], v[14:17], off
	global_store_dwordx4 v[56:57], v[2:5], off
	;; [unrolled: 1-line block ×5, first 2 shown]
	v_fma_f64 v[20:21], v[86:87], v[20:21], -v[64:65]
	v_fma_f64 v[28:29], v[80:81], v[24:25], -v[68:69]
	v_add_co_u32 v42, s0, v78, s6
	v_add_co_ci_u32_e64 v43, s0, s7, v79, s0
	v_mul_f64 v[2:3], v[46:47], s[2:3]
	v_mul_f64 v[4:5], v[50:51], s[2:3]
	v_add_co_u32 v48, s0, v42, s4
	v_add_co_ci_u32_e64 v49, s0, s5, v43, s0
	v_mul_f64 v[14:15], v[52:53], s[2:3]
	v_mul_f64 v[16:17], v[58:59], s[2:3]
	s_clause 0x3
	buffer_load_dword v58, off, s[36:39], 0 offset:260
	buffer_load_dword v59, off, s[36:39], 0 offset:264
	;; [unrolled: 1-line block ×4, first 2 shown]
	v_fma_f64 v[26:27], v[80:81], v[22:23], v[66:67]
	v_add_co_u32 v50, s0, v48, s6
	v_fma_f64 v[18:19], v[86:87], v[18:19], v[54:55]
	s_clause 0x3
	buffer_load_dword v54, off, s[36:39], 0 offset:244
	buffer_load_dword v55, off, s[36:39], 0 offset:248
	;; [unrolled: 1-line block ×4, first 2 shown]
	v_add_co_ci_u32_e64 v51, s0, s7, v49, s0
	v_mul_f64 v[20:21], v[20:21], s[2:3]
	v_mul_f64 v[28:29], v[28:29], s[2:3]
	ds_read_b128 v[22:25], v180 offset:7168
	v_add_co_u32 v52, s0, v50, s4
	v_add_co_ci_u32_e64 v53, s0, s5, v51, s0
	v_mul_f64 v[26:27], v[26:27], s[2:3]
	v_mul_f64 v[18:19], v[18:19], s[2:3]
	s_waitcnt vmcnt(12) lgkmcnt(4)
	v_mul_f64 v[70:71], v[84:85], v[32:33]
	v_mul_f64 v[72:73], v[84:85], v[30:31]
	s_waitcnt vmcnt(8) lgkmcnt(3)
	v_mul_f64 v[74:75], v[90:91], v[40:41]
	v_mul_f64 v[76:77], v[90:91], v[38:39]
	v_fma_f64 v[30:31], v[82:83], v[30:31], v[70:71]
	v_fma_f64 v[32:33], v[82:83], v[32:33], -v[72:73]
	v_fma_f64 v[34:35], v[88:89], v[38:39], v[74:75]
	v_fma_f64 v[36:37], v[88:89], v[40:41], -v[76:77]
	s_waitcnt vmcnt(4) lgkmcnt(2)
	v_mul_f64 v[38:39], v[60:61], v[8:9]
	v_mul_f64 v[40:41], v[60:61], v[6:7]
	s_waitcnt vmcnt(0) lgkmcnt(1)
	v_mul_f64 v[44:45], v[56:57], v[12:13]
	v_mul_f64 v[46:47], v[56:57], v[10:11]
	;; [unrolled: 1-line block ×6, first 2 shown]
	v_fma_f64 v[38:39], v[58:59], v[6:7], v[38:39]
	v_fma_f64 v[40:41], v[58:59], v[8:9], -v[40:41]
	ds_read_b128 v[6:9], v180 offset:8064
	s_clause 0x3
	buffer_load_dword v58, off, s[36:39], 0 offset:76
	buffer_load_dword v59, off, s[36:39], 0 offset:80
	buffer_load_dword v60, off, s[36:39], 0 offset:84
	buffer_load_dword v61, off, s[36:39], 0 offset:88
	v_fma_f64 v[44:45], v[54:55], v[10:11], v[44:45]
	v_add_co_u32 v10, s0, v52, s6
	v_add_co_ci_u32_e64 v11, s0, s7, v53, s0
	global_store_dwordx4 v[42:43], v[2:5], off
	v_add_co_u32 v42, s0, v10, s4
	v_add_co_ci_u32_e64 v43, s0, s5, v11, s0
	ds_read_b128 v[2:5], v180 offset:18368
	global_store_dwordx4 v[48:49], v[14:17], off
	global_store_dwordx4 v[50:51], v[18:21], off
	global_store_dwordx4 v[52:53], v[26:29], off
	global_store_dwordx4 v[10:11], v[30:33], off
	global_store_dwordx4 v[42:43], v[34:37], off
	buffer_load_dword v26, off, s[36:39], 0 offset:56 ; 4-byte Folded Reload
	v_fma_f64 v[46:47], v[54:55], v[12:13], -v[46:47]
	v_add_co_u32 v42, s0, v42, s6
	v_mul_f64 v[10:11], v[38:39], s[2:3]
	v_mul_f64 v[12:13], v[40:41], s[2:3]
	v_add_co_ci_u32_e64 v43, s0, s7, v43, s0
	v_mul_f64 v[14:15], v[44:45], s[2:3]
	ds_read_b128 v[18:21], v180 offset:19264
	v_mul_f64 v[16:17], v[46:47], s[2:3]
	s_waitcnt vmcnt(1) lgkmcnt(3)
	v_mul_f64 v[54:55], v[60:61], v[24:25]
	v_mul_f64 v[56:57], v[60:61], v[22:23]
	s_waitcnt vmcnt(0)
	v_mad_u64_u32 v[38:39], null, s8, v26, 0
	v_fma_f64 v[40:41], v[58:59], v[22:23], v[54:55]
	v_mov_b32_e32 v22, v39
	v_fma_f64 v[44:45], v[58:59], v[24:25], -v[56:57]
	s_clause 0x3
	buffer_load_dword v57, off, s[36:39], 0 offset:92
	buffer_load_dword v58, off, s[36:39], 0 offset:96
	;; [unrolled: 1-line block ×4, first 2 shown]
	v_mad_u64_u32 v[50:51], null, s9, v26, v[22:23]
	v_add_co_u32 v51, s0, v42, s4
	v_add_co_ci_u32_e64 v52, s0, s5, v43, s0
	ds_read_b128 v[22:25], v180 offset:8960
	ds_read_b128 v[26:29], v180 offset:20160
	;; [unrolled: 1-line block ×3, first 2 shown]
	s_clause 0x3
	buffer_load_dword v63, off, s[36:39], 0 offset:60
	buffer_load_dword v64, off, s[36:39], 0 offset:64
	;; [unrolled: 1-line block ×4, first 2 shown]
	ds_read_b128 v[34:37], v180 offset:21056
	global_store_dwordx4 v[42:43], v[10:13], off
	global_store_dwordx4 v[51:52], v[14:17], off
	s_clause 0x3
	buffer_load_dword v69, off, s[36:39], 0 offset:132
	buffer_load_dword v70, off, s[36:39], 0 offset:136
	;; [unrolled: 1-line block ×4, first 2 shown]
	v_mov_b32_e32 v39, v50
	v_mul_f64 v[10:11], v[40:41], s[2:3]
	v_lshlrev_b64 v[14:15], 4, v[38:39]
	v_mad_u64_u32 v[40:41], null, 0x380, s8, v[51:52]
	v_mul_f64 v[12:13], v[44:45], s[2:3]
	v_add_co_u32 v0, s0, v0, v14
	v_add_co_ci_u32_e64 v1, s0, v1, v15, s0
	v_mov_b32_e32 v14, v41
	s_waitcnt vmcnt(8) lgkmcnt(5)
	v_mul_f64 v[46:47], v[59:60], v[4:5]
	v_mul_f64 v[48:49], v[59:60], v[2:3]
	s_waitcnt vmcnt(4)
	v_mul_f64 v[53:54], v[65:66], v[8:9]
	v_mul_f64 v[55:56], v[65:66], v[6:7]
	s_clause 0x3
	buffer_load_dword v65, off, s[36:39], 0 offset:116
	buffer_load_dword v66, off, s[36:39], 0 offset:120
	;; [unrolled: 1-line block ×4, first 2 shown]
	s_waitcnt vmcnt(4) lgkmcnt(4)
	v_mul_f64 v[16:17], v[71:72], v[20:21]
	v_mul_f64 v[38:39], v[71:72], v[18:19]
	s_clause 0x3
	buffer_load_dword v71, off, s[36:39], 0 offset:148
	buffer_load_dword v72, off, s[36:39], 0 offset:152
	buffer_load_dword v73, off, s[36:39], 0 offset:156
	buffer_load_dword v74, off, s[36:39], 0 offset:160
	v_fma_f64 v[2:3], v[57:58], v[2:3], v[46:47]
	v_fma_f64 v[4:5], v[57:58], v[4:5], -v[48:49]
	v_fma_f64 v[6:7], v[63:64], v[6:7], v[53:54]
	v_fma_f64 v[8:9], v[63:64], v[8:9], -v[55:56]
	;; [unrolled: 2-line block ×3, first 2 shown]
	s_waitcnt vmcnt(4) lgkmcnt(3)
	v_mul_f64 v[42:43], v[67:68], v[24:25]
	v_mul_f64 v[44:45], v[67:68], v[22:23]
	s_waitcnt vmcnt(0) lgkmcnt(2)
	v_mul_f64 v[46:47], v[73:74], v[28:29]
	v_mul_f64 v[48:49], v[73:74], v[26:27]
	s_clause 0x3
	buffer_load_dword v73, off, s[36:39], 0 offset:164
	buffer_load_dword v74, off, s[36:39], 0 offset:168
	;; [unrolled: 1-line block ×4, first 2 shown]
	v_fma_f64 v[19:20], v[65:66], v[24:25], -v[44:45]
	s_waitcnt vmcnt(0) lgkmcnt(1)
	v_mul_f64 v[50:51], v[75:76], v[32:33]
	v_mul_f64 v[57:58], v[75:76], v[30:31]
	s_clause 0x3
	buffer_load_dword v75, off, s[36:39], 0 offset:180
	buffer_load_dword v76, off, s[36:39], 0 offset:184
	;; [unrolled: 1-line block ×4, first 2 shown]
	global_store_dwordx4 v[0:1], v[10:13], off
	v_fma_f64 v[12:13], v[65:66], v[22:23], v[42:43]
	v_fma_f64 v[21:22], v[71:72], v[26:27], v[46:47]
	v_fma_f64 v[23:24], v[71:72], v[28:29], -v[48:49]
	v_mad_u64_u32 v[10:11], null, 0x380, s9, v[14:15]
	v_mul_f64 v[0:1], v[2:3], s[2:3]
	v_mul_f64 v[2:3], v[4:5], s[2:3]
	;; [unrolled: 1-line block ×6, first 2 shown]
	v_mov_b32_e32 v41, v10
	v_mul_f64 v[10:11], v[17:18], s[2:3]
	v_fma_f64 v[25:26], v[73:74], v[30:31], v[50:51]
	v_fma_f64 v[27:28], v[73:74], v[32:33], -v[57:58]
	v_add_co_u32 v33, s0, v40, s6
	v_mul_f64 v[12:13], v[12:13], s[2:3]
	v_mul_f64 v[16:17], v[21:22], s[2:3]
	;; [unrolled: 1-line block ×3, first 2 shown]
	global_store_dwordx4 v[40:41], v[0:3], off
	v_mul_f64 v[20:21], v[25:26], s[2:3]
	v_mul_f64 v[22:23], v[27:28], s[2:3]
	s_waitcnt vmcnt(0) lgkmcnt(0)
	v_mul_f64 v[59:60], v[77:78], v[36:37]
	v_mul_f64 v[61:62], v[77:78], v[34:35]
	v_fma_f64 v[29:30], v[75:76], v[34:35], v[59:60]
	v_fma_f64 v[31:32], v[75:76], v[36:37], -v[61:62]
	v_add_co_ci_u32_e64 v34, s0, s7, v41, s0
	v_add_co_u32 v35, s0, v33, s4
	v_add_co_ci_u32_e64 v36, s0, s5, v34, s0
	v_add_co_u32 v28, s0, v35, s6
	global_store_dwordx4 v[33:34], v[4:7], off
	v_mul_f64 v[24:25], v[29:30], s[2:3]
	v_add_co_ci_u32_e64 v29, s0, s7, v36, s0
	v_mul_f64 v[26:27], v[31:32], s[2:3]
	v_add_co_u32 v30, s0, v28, s4
	v_add_co_ci_u32_e64 v31, s0, s5, v29, s0
	v_add_co_u32 v2, s0, v30, s6
	v_add_co_ci_u32_e64 v3, s0, s7, v31, s0
	;; [unrolled: 2-line block ×3, first 2 shown]
	global_store_dwordx4 v[35:36], v[8:11], off
	global_store_dwordx4 v[28:29], v[12:15], off
	;; [unrolled: 1-line block ×5, first 2 shown]
	s_and_b32 exec_lo, exec_lo, vcc_lo
	s_cbranch_execz .LBB0_39
; %bb.38:
	s_clause 0x1
	buffer_load_dword v2, off, s[36:39], 0 offset:40
	buffer_load_dword v3, off, s[36:39], 0 offset:44
	s_waitcnt vmcnt(0)
	global_load_dwordx4 v[2:5], v[2:3], off offset:512
	ds_read_b128 v[6:9], v180 offset:10752
	ds_read_b128 v[10:13], v180 offset:21952
	s_waitcnt vmcnt(0) lgkmcnt(1)
	v_mul_f64 v[14:15], v[8:9], v[4:5]
	v_mul_f64 v[4:5], v[6:7], v[4:5]
	v_fma_f64 v[6:7], v[6:7], v[2:3], v[14:15]
	v_fma_f64 v[4:5], v[2:3], v[8:9], -v[4:5]
	v_mul_f64 v[2:3], v[6:7], s[2:3]
	v_mul_f64 v[4:5], v[4:5], s[2:3]
	v_add_co_u32 v6, vcc_lo, v0, s6
	v_add_co_ci_u32_e32 v7, vcc_lo, s7, v1, vcc_lo
	global_store_dwordx4 v[6:7], v[2:5], off
	s_clause 0x1
	buffer_load_dword v0, off, s[36:39], 0 offset:108
	buffer_load_dword v1, off, s[36:39], 0 offset:112
	s_waitcnt vmcnt(0)
	global_load_dwordx4 v[0:3], v[0:1], off offset:1472
	s_waitcnt vmcnt(0) lgkmcnt(0)
	v_mul_f64 v[4:5], v[12:13], v[2:3]
	v_mul_f64 v[2:3], v[10:11], v[2:3]
	v_fma_f64 v[4:5], v[10:11], v[0:1], v[4:5]
	v_fma_f64 v[2:3], v[0:1], v[12:13], -v[2:3]
	v_mul_f64 v[0:1], v[4:5], s[2:3]
	v_mul_f64 v[2:3], v[2:3], s[2:3]
	v_add_co_u32 v4, vcc_lo, v6, s4
	v_add_co_ci_u32_e32 v5, vcc_lo, s5, v7, vcc_lo
	global_store_dwordx4 v[4:5], v[0:3], off
.LBB0_39:
	s_endpgm
	.section	.rodata,"a",@progbits
	.p2align	6, 0x0
	.amdhsa_kernel bluestein_single_fwd_len1400_dim1_dp_op_CI_CI
		.amdhsa_group_segment_fixed_size 22400
		.amdhsa_private_segment_fixed_size 936
		.amdhsa_kernarg_size 104
		.amdhsa_user_sgpr_count 6
		.amdhsa_user_sgpr_private_segment_buffer 1
		.amdhsa_user_sgpr_dispatch_ptr 0
		.amdhsa_user_sgpr_queue_ptr 0
		.amdhsa_user_sgpr_kernarg_segment_ptr 1
		.amdhsa_user_sgpr_dispatch_id 0
		.amdhsa_user_sgpr_flat_scratch_init 0
		.amdhsa_user_sgpr_private_segment_size 0
		.amdhsa_wavefront_size32 1
		.amdhsa_uses_dynamic_stack 0
		.amdhsa_system_sgpr_private_segment_wavefront_offset 1
		.amdhsa_system_sgpr_workgroup_id_x 1
		.amdhsa_system_sgpr_workgroup_id_y 0
		.amdhsa_system_sgpr_workgroup_id_z 0
		.amdhsa_system_sgpr_workgroup_info 0
		.amdhsa_system_vgpr_workitem_id 0
		.amdhsa_next_free_vgpr 256
		.amdhsa_next_free_sgpr 40
		.amdhsa_reserve_vcc 1
		.amdhsa_reserve_flat_scratch 0
		.amdhsa_float_round_mode_32 0
		.amdhsa_float_round_mode_16_64 0
		.amdhsa_float_denorm_mode_32 3
		.amdhsa_float_denorm_mode_16_64 3
		.amdhsa_dx10_clamp 1
		.amdhsa_ieee_mode 1
		.amdhsa_fp16_overflow 0
		.amdhsa_workgroup_processor_mode 1
		.amdhsa_memory_ordered 1
		.amdhsa_forward_progress 0
		.amdhsa_shared_vgpr_count 0
		.amdhsa_exception_fp_ieee_invalid_op 0
		.amdhsa_exception_fp_denorm_src 0
		.amdhsa_exception_fp_ieee_div_zero 0
		.amdhsa_exception_fp_ieee_overflow 0
		.amdhsa_exception_fp_ieee_underflow 0
		.amdhsa_exception_fp_ieee_inexact 0
		.amdhsa_exception_int_div_zero 0
	.end_amdhsa_kernel
	.text
.Lfunc_end0:
	.size	bluestein_single_fwd_len1400_dim1_dp_op_CI_CI, .Lfunc_end0-bluestein_single_fwd_len1400_dim1_dp_op_CI_CI
                                        ; -- End function
	.section	.AMDGPU.csdata,"",@progbits
; Kernel info:
; codeLenInByte = 41888
; NumSgprs: 42
; NumVgprs: 256
; ScratchSize: 936
; MemoryBound: 0
; FloatMode: 240
; IeeeMode: 1
; LDSByteSize: 22400 bytes/workgroup (compile time only)
; SGPRBlocks: 5
; VGPRBlocks: 31
; NumSGPRsForWavesPerEU: 42
; NumVGPRsForWavesPerEU: 256
; Occupancy: 3
; WaveLimiterHint : 1
; COMPUTE_PGM_RSRC2:SCRATCH_EN: 1
; COMPUTE_PGM_RSRC2:USER_SGPR: 6
; COMPUTE_PGM_RSRC2:TRAP_HANDLER: 0
; COMPUTE_PGM_RSRC2:TGID_X_EN: 1
; COMPUTE_PGM_RSRC2:TGID_Y_EN: 0
; COMPUTE_PGM_RSRC2:TGID_Z_EN: 0
; COMPUTE_PGM_RSRC2:TIDIG_COMP_CNT: 0
	.text
	.p2alignl 6, 3214868480
	.fill 48, 4, 3214868480
	.type	__hip_cuid_9515e77efa177a7d,@object ; @__hip_cuid_9515e77efa177a7d
	.section	.bss,"aw",@nobits
	.globl	__hip_cuid_9515e77efa177a7d
__hip_cuid_9515e77efa177a7d:
	.byte	0                               ; 0x0
	.size	__hip_cuid_9515e77efa177a7d, 1

	.ident	"AMD clang version 19.0.0git (https://github.com/RadeonOpenCompute/llvm-project roc-6.4.0 25133 c7fe45cf4b819c5991fe208aaa96edf142730f1d)"
	.section	".note.GNU-stack","",@progbits
	.addrsig
	.addrsig_sym __hip_cuid_9515e77efa177a7d
	.amdgpu_metadata
---
amdhsa.kernels:
  - .args:
      - .actual_access:  read_only
        .address_space:  global
        .offset:         0
        .size:           8
        .value_kind:     global_buffer
      - .actual_access:  read_only
        .address_space:  global
        .offset:         8
        .size:           8
        .value_kind:     global_buffer
      - .actual_access:  read_only
        .address_space:  global
        .offset:         16
        .size:           8
        .value_kind:     global_buffer
      - .actual_access:  read_only
        .address_space:  global
        .offset:         24
        .size:           8
        .value_kind:     global_buffer
      - .actual_access:  read_only
        .address_space:  global
        .offset:         32
        .size:           8
        .value_kind:     global_buffer
      - .offset:         40
        .size:           8
        .value_kind:     by_value
      - .address_space:  global
        .offset:         48
        .size:           8
        .value_kind:     global_buffer
      - .address_space:  global
        .offset:         56
        .size:           8
        .value_kind:     global_buffer
      - .address_space:  global
        .offset:         64
        .size:           8
        .value_kind:     global_buffer
      - .address_space:  global
        .offset:         72
        .size:           8
        .value_kind:     global_buffer
      - .offset:         80
        .size:           4
        .value_kind:     by_value
      - .address_space:  global
        .offset:         88
        .size:           8
        .value_kind:     global_buffer
      - .address_space:  global
        .offset:         96
        .size:           8
        .value_kind:     global_buffer
    .group_segment_fixed_size: 22400
    .kernarg_segment_align: 8
    .kernarg_segment_size: 104
    .language:       OpenCL C
    .language_version:
      - 2
      - 0
    .max_flat_workgroup_size: 56
    .name:           bluestein_single_fwd_len1400_dim1_dp_op_CI_CI
    .private_segment_fixed_size: 936
    .sgpr_count:     42
    .sgpr_spill_count: 0
    .symbol:         bluestein_single_fwd_len1400_dim1_dp_op_CI_CI.kd
    .uniform_work_group_size: 1
    .uses_dynamic_stack: false
    .vgpr_count:     256
    .vgpr_spill_count: 241
    .wavefront_size: 32
    .workgroup_processor_mode: 1
amdhsa.target:   amdgcn-amd-amdhsa--gfx1030
amdhsa.version:
  - 1
  - 2
...

	.end_amdgpu_metadata
